;; amdgpu-corpus repo=ROCm/rocFFT kind=compiled arch=gfx906 opt=O3
	.text
	.amdgcn_target "amdgcn-amd-amdhsa--gfx906"
	.amdhsa_code_object_version 6
	.protected	bluestein_single_back_len1664_dim1_sp_op_CI_CI ; -- Begin function bluestein_single_back_len1664_dim1_sp_op_CI_CI
	.globl	bluestein_single_back_len1664_dim1_sp_op_CI_CI
	.p2align	8
	.type	bluestein_single_back_len1664_dim1_sp_op_CI_CI,@function
bluestein_single_back_len1664_dim1_sp_op_CI_CI: ; @bluestein_single_back_len1664_dim1_sp_op_CI_CI
; %bb.0:
	s_load_dwordx4 s[0:3], s[4:5], 0x28
	v_mul_u32_u24_e32 v1, 0x13c, v0
	v_add_u32_sdwa v32, s6, v1 dst_sel:DWORD dst_unused:UNUSED_PAD src0_sel:DWORD src1_sel:WORD_1
	v_mov_b32_e32 v33, 0
	s_waitcnt lgkmcnt(0)
	v_cmp_gt_u64_e32 vcc, s[0:1], v[32:33]
	s_and_saveexec_b64 s[0:1], vcc
	s_cbranch_execz .LBB0_15
; %bb.1:
	s_load_dwordx2 s[12:13], s[4:5], 0x0
	s_load_dwordx2 s[14:15], s[4:5], 0x38
	s_movk_i32 s0, 0xd0
	v_mul_lo_u16_sdwa v1, v1, s0 dst_sel:DWORD dst_unused:UNUSED_PAD src0_sel:WORD_1 src1_sel:DWORD
	v_sub_u16_e32 v80, v0, v1
	s_movk_i32 s0, 0x80
	v_cmp_gt_u16_e64 s[0:1], s0, v80
	v_lshlrev_b32_e32 v79, 3, v80
	s_and_saveexec_b64 s[6:7], s[0:1]
	s_cbranch_execz .LBB0_3
; %bb.2:
	s_load_dwordx2 s[8:9], s[4:5], 0x18
	v_or_b32_e32 v9, 0x80, v80
	v_mov_b32_e32 v8, s3
	v_or_b32_e32 v27, 0x200, v80
	v_or_b32_e32 v30, 0x300, v80
	s_waitcnt lgkmcnt(0)
	s_load_dwordx4 s[8:11], s[8:9], 0x0
	v_or_b32_e32 v36, 0x380, v80
	v_or_b32_e32 v40, 0x400, v80
	;; [unrolled: 1-line block ×4, first 2 shown]
	s_waitcnt lgkmcnt(0)
	v_mad_u64_u32 v[0:1], s[16:17], s10, v32, 0
	v_mad_u64_u32 v[2:3], s[16:17], s8, v80, 0
	v_or_b32_e32 v52, 0x580, v80
	v_or_b32_e32 v54, 0x600, v80
	v_mad_u64_u32 v[4:5], s[10:11], s11, v32, v[1:2]
	v_mad_u64_u32 v[5:6], s[10:11], s9, v80, v[3:4]
	;; [unrolled: 1-line block ×3, first 2 shown]
	v_mov_b32_e32 v1, v4
	v_lshlrev_b64 v[0:1], 3, v[0:1]
	v_mov_b32_e32 v3, v5
	v_add_co_u32_e32 v31, vcc, s2, v0
	v_addc_co_u32_e32 v53, vcc, v8, v1, vcc
	v_lshlrev_b64 v[0:1], 3, v[2:3]
	v_mov_b32_e32 v2, v7
	v_mad_u64_u32 v[2:3], s[2:3], s9, v9, v[2:3]
	v_or_b32_e32 v8, 0x100, v80
	v_mad_u64_u32 v[3:4], s[2:3], s8, v8, 0
	v_mov_b32_e32 v7, v2
	v_lshlrev_b64 v[5:6], 3, v[6:7]
	v_mov_b32_e32 v2, v4
	v_mad_u64_u32 v[7:8], s[2:3], s9, v8, v[2:3]
	v_or_b32_e32 v9, 0x180, v80
	v_add_co_u32_e32 v0, vcc, v31, v0
	v_mov_b32_e32 v4, v7
	v_mad_u64_u32 v[7:8], s[2:3], s8, v9, 0
	v_addc_co_u32_e32 v1, vcc, v53, v1, vcc
	v_add_co_u32_e32 v5, vcc, v31, v5
	v_lshlrev_b64 v[2:3], 3, v[3:4]
	v_mov_b32_e32 v4, v8
	v_mad_u64_u32 v[8:9], s[2:3], s9, v9, v[4:5]
	global_load_dwordx2 v[9:10], v79, s[12:13]
	global_load_dwordx2 v[11:12], v79, s[12:13] offset:1024
	global_load_dwordx2 v[13:14], v79, s[12:13] offset:2048
	v_mad_u64_u32 v[15:16], s[2:3], s8, v27, 0
	v_addc_co_u32_e32 v6, vcc, v53, v6, vcc
	v_mov_b32_e32 v4, v16
	v_mad_u64_u32 v[16:17], s[2:3], s9, v27, v[4:5]
	v_add_co_u32_e32 v2, vcc, v31, v2
	v_lshlrev_b64 v[7:8], 3, v[7:8]
	v_addc_co_u32_e32 v3, vcc, v53, v3, vcc
	v_add_co_u32_e32 v7, vcc, v31, v7
	v_addc_co_u32_e32 v8, vcc, v53, v8, vcc
	global_load_dwordx2 v[17:18], v[0:1], off
	global_load_dwordx2 v[19:20], v[5:6], off
	;; [unrolled: 1-line block ×4, first 2 shown]
	global_load_dwordx2 v[25:26], v79, s[12:13] offset:3072
	v_lshlrev_b64 v[0:1], 3, v[15:16]
	v_or_b32_e32 v15, 0x280, v80
	v_mad_u64_u32 v[2:3], s[2:3], s8, v15, 0
	v_mad_u64_u32 v[6:7], s[2:3], s8, v30, 0
	;; [unrolled: 1-line block ×3, first 2 shown]
	v_lshlrev_b32_e32 v4, 3, v27
	v_mad_u64_u32 v[27:28], s[2:3], s8, v36, 0
	v_mad_u64_u32 v[7:8], s[2:3], s9, v30, v[7:8]
	;; [unrolled: 1-line block ×3, first 2 shown]
	v_lshlrev_b32_e32 v8, 3, v15
	global_load_dwordx2 v[4:5], v4, s[12:13]
	v_mad_u64_u32 v[37:38], s[2:3], s8, v44, 0
	global_load_dwordx2 v[15:16], v8, s[12:13]
	v_mov_b32_e32 v8, v28
	v_add_co_u32_e32 v0, vcc, v31, v0
	v_lshlrev_b64 v[2:3], 3, v[2:3]
	v_addc_co_u32_e32 v1, vcc, v53, v1, vcc
	v_mad_u64_u32 v[41:42], s[2:3], s8, v48, 0
	v_add_co_u32_e32 v2, vcc, v31, v2
	v_lshlrev_b64 v[6:7], 3, v[6:7]
	v_addc_co_u32_e32 v3, vcc, v53, v3, vcc
	v_mad_u64_u32 v[45:46], s[2:3], s8, v52, 0
	v_add_co_u32_e32 v6, vcc, v31, v6
	v_addc_co_u32_e32 v7, vcc, v53, v7, vcc
	v_mad_u64_u32 v[49:50], s[2:3], s8, v54, 0
	global_load_dwordx2 v[0:1], v[0:1], off
	s_waitcnt vmcnt(10)
	v_mad_u64_u32 v[28:29], s[2:3], s9, v36, v[8:9]
	global_load_dwordx2 v[2:3], v[2:3], off
	v_lshlrev_b32_e32 v8, 3, v30
	global_load_dwordx2 v[6:7], v[6:7], off
	v_lshlrev_b64 v[27:28], 3, v[27:28]
	global_load_dwordx2 v[29:30], v8, s[12:13]
	v_mov_b32_e32 v8, v34
	v_mad_u64_u32 v[34:35], s[2:3], s9, v40, v[8:9]
	v_lshlrev_b32_e32 v8, 3, v36
	global_load_dwordx2 v[35:36], v8, s[12:13]
	v_mov_b32_e32 v8, v38
	v_mad_u64_u32 v[38:39], s[2:3], s9, v44, v[8:9]
	v_lshlrev_b32_e32 v8, 3, v40
	global_load_dwordx2 v[39:40], v8, s[12:13]
	v_mov_b32_e32 v8, v42
	v_add_co_u32_e32 v27, vcc, v31, v27
	v_lshlrev_b64 v[33:34], 3, v[33:34]
	v_mad_u64_u32 v[42:43], s[2:3], s9, v48, v[8:9]
	v_lshlrev_b32_e32 v8, 3, v44
	v_addc_co_u32_e32 v28, vcc, v53, v28, vcc
	global_load_dwordx2 v[27:28], v[27:28], off
	v_add_co_u32_e32 v33, vcc, v31, v33
	global_load_dwordx2 v[43:44], v8, s[12:13]
	v_mov_b32_e32 v8, v46
	v_lshlrev_b64 v[37:38], 3, v[37:38]
	v_mad_u64_u32 v[46:47], s[2:3], s9, v52, v[8:9]
	v_lshlrev_b32_e32 v8, 3, v48
	v_addc_co_u32_e32 v34, vcc, v53, v34, vcc
	global_load_dwordx2 v[47:48], v8, s[12:13]
	v_mov_b32_e32 v8, v50
	v_add_co_u32_e32 v37, vcc, v31, v37
	v_lshlrev_b64 v[41:42], 3, v[41:42]
	v_mad_u64_u32 v[50:51], s[2:3], s9, v54, v[8:9]
	v_addc_co_u32_e32 v38, vcc, v53, v38, vcc
	v_add_co_u32_e32 v41, vcc, v31, v41
	v_lshlrev_b64 v[45:46], 3, v[45:46]
	v_addc_co_u32_e32 v42, vcc, v53, v42, vcc
	global_load_dwordx2 v[33:34], v[33:34], off
	v_add_co_u32_e32 v45, vcc, v31, v45
	global_load_dwordx2 v[37:38], v[37:38], off
	v_lshlrev_b64 v[49:50], 3, v[49:50]
	global_load_dwordx2 v[41:42], v[41:42], off
	v_addc_co_u32_e32 v46, vcc, v53, v46, vcc
	global_load_dwordx2 v[45:46], v[45:46], off
	v_lshlrev_b32_e32 v8, 3, v52
	global_load_dwordx2 v[51:52], v8, s[12:13]
	v_add_co_u32_e32 v49, vcc, v31, v49
	v_addc_co_u32_e32 v50, vcc, v53, v50, vcc
	v_lshlrev_b32_e32 v8, 3, v54
	global_load_dwordx2 v[49:50], v[49:50], off
	s_nop 0
	global_load_dwordx2 v[53:54], v8, s[12:13]
	s_waitcnt vmcnt(22)
	v_mul_f32_e32 v8, v18, v10
	v_mul_f32_e32 v10, v17, v10
	v_fmac_f32_e32 v8, v17, v9
	v_fma_f32 v9, v18, v9, -v10
	s_waitcnt vmcnt(21)
	v_mul_f32_e32 v10, v20, v12
	v_mul_f32_e32 v12, v19, v12
	v_fmac_f32_e32 v10, v19, v11
	v_fma_f32 v11, v20, v11, -v12
	ds_write2st64_b64 v79, v[8:9], v[10:11] offset1:2
	s_waitcnt vmcnt(20)
	v_mul_f32_e32 v8, v22, v14
	v_mul_f32_e32 v9, v21, v14
	s_waitcnt vmcnt(18)
	v_mul_f32_e32 v10, v24, v26
	v_mul_f32_e32 v11, v23, v26
	v_fmac_f32_e32 v8, v21, v13
	v_fma_f32 v9, v22, v13, -v9
	v_fmac_f32_e32 v10, v23, v25
	v_fma_f32 v11, v24, v25, -v11
	ds_write2st64_b64 v79, v[8:9], v[10:11] offset0:4 offset1:6
	s_waitcnt vmcnt(15)
	v_mul_f32_e32 v8, v1, v5
	v_fmac_f32_e32 v8, v0, v4
	v_mul_f32_e32 v0, v0, v5
	v_fma_f32 v9, v1, v4, -v0
	s_waitcnt vmcnt(14)
	v_mul_f32_e32 v0, v3, v16
	v_mul_f32_e32 v1, v2, v16
	v_fmac_f32_e32 v0, v2, v15
	v_fma_f32 v1, v3, v15, -v1
	ds_write2st64_b64 v79, v[8:9], v[0:1] offset0:8 offset1:10
	s_waitcnt vmcnt(12)
	v_mul_f32_e32 v0, v7, v30
	v_mul_f32_e32 v1, v6, v30
	v_fmac_f32_e32 v0, v6, v29
	v_fma_f32 v1, v7, v29, -v1
	s_waitcnt vmcnt(9)
	v_mul_f32_e32 v2, v28, v36
	v_mul_f32_e32 v3, v27, v36
	v_fmac_f32_e32 v2, v27, v35
	v_fma_f32 v3, v28, v35, -v3
	ds_write2st64_b64 v79, v[0:1], v[2:3] offset0:12 offset1:14
	s_waitcnt vmcnt(6)
	v_mul_f32_e32 v0, v34, v40
	v_mul_f32_e32 v1, v33, v40
	v_fmac_f32_e32 v0, v33, v39
	s_waitcnt vmcnt(5)
	v_mul_f32_e32 v2, v38, v44
	v_mul_f32_e32 v3, v37, v44
	v_fma_f32 v1, v34, v39, -v1
	v_fmac_f32_e32 v2, v37, v43
	v_fma_f32 v3, v38, v43, -v3
	ds_write2st64_b64 v79, v[0:1], v[2:3] offset0:16 offset1:18
	s_waitcnt vmcnt(4)
	v_mul_f32_e32 v0, v42, v48
	v_mul_f32_e32 v1, v41, v48
	s_waitcnt vmcnt(2)
	v_mul_f32_e32 v2, v46, v52
	v_mul_f32_e32 v3, v45, v52
	v_fmac_f32_e32 v0, v41, v47
	v_fma_f32 v1, v42, v47, -v1
	v_fmac_f32_e32 v2, v45, v51
	v_fma_f32 v3, v46, v51, -v3
	ds_write2st64_b64 v79, v[0:1], v[2:3] offset0:20 offset1:22
	s_waitcnt vmcnt(0)
	v_mul_f32_e32 v0, v50, v54
	v_mul_f32_e32 v1, v49, v54
	v_fmac_f32_e32 v0, v49, v53
	v_fma_f32 v1, v50, v53, -v1
	ds_write_b64 v79, v[0:1] offset:12288
.LBB0_3:
	s_or_b64 exec, exec, s[6:7]
	s_load_dwordx2 s[6:7], s[4:5], 0x20
	s_load_dwordx2 s[2:3], s[4:5], 0x8
	v_mov_b32_e32 v8, 0
	v_mov_b32_e32 v9, 0
	s_waitcnt lgkmcnt(0)
	s_barrier
	s_waitcnt lgkmcnt(0)
                                        ; implicit-def: $vgpr14
                                        ; implicit-def: $vgpr16
                                        ; implicit-def: $vgpr28
                                        ; implicit-def: $vgpr35
                                        ; implicit-def: $vgpr26
                                        ; implicit-def: $vgpr22
	s_and_saveexec_b64 s[4:5], s[0:1]
	s_cbranch_execz .LBB0_5
; %bb.4:
	ds_read2st64_b64 v[8:11], v79 offset1:2
	ds_read2st64_b64 v[20:23], v79 offset0:4 offset1:6
	ds_read2st64_b64 v[24:27], v79 offset0:8 offset1:10
	;; [unrolled: 1-line block ×5, first 2 shown]
	ds_read_b64 v[35:36], v79 offset:12288
.LBB0_5:
	s_or_b64 exec, exec, s[4:5]
	s_waitcnt lgkmcnt(0)
	v_sub_f32_e32 v60, v11, v36
	v_mul_f32_e32 v40, 0xbeedf032, v60
	v_sub_f32_e32 v65, v21, v31
	v_add_f32_e32 v37, v35, v10
	v_sub_f32_e32 v62, v10, v35
	v_mov_b32_e32 v0, v40
	v_mul_f32_e32 v45, 0xbf52af12, v65
	v_add_f32_e32 v38, v36, v11
	s_mov_b32 s8, 0x3f62ad3f
	v_mul_f32_e32 v42, 0xbeedf032, v62
	v_fmac_f32_e32 v0, 0x3f62ad3f, v37
	v_add_f32_e32 v39, v30, v20
	v_sub_f32_e32 v71, v20, v30
	v_mov_b32_e32 v2, v45
	v_add_f32_e32 v0, v0, v8
	v_fma_f32 v1, v38, s8, -v42
	s_mov_b32 s9, 0x3f116cb1
	v_add_f32_e32 v41, v31, v21
	v_mul_f32_e32 v46, 0xbf52af12, v71
	v_fmac_f32_e32 v2, 0x3f116cb1, v39
	v_sub_f32_e32 v76, v23, v29
	v_add_f32_e32 v1, v1, v9
	v_add_f32_e32 v0, v2, v0
	v_fma_f32 v2, v41, s9, -v46
	v_mul_f32_e32 v49, 0xbf7e222b, v76
	v_add_f32_e32 v1, v2, v1
	v_add_f32_e32 v43, v28, v22
	v_sub_f32_e32 v78, v22, v28
	v_mov_b32_e32 v2, v49
	s_mov_b32 s10, 0x3df6dbef
	v_add_f32_e32 v44, v29, v23
	v_mul_f32_e32 v50, 0xbf7e222b, v78
	v_fmac_f32_e32 v2, 0x3df6dbef, v43
	v_sub_f32_e32 v86, v25, v19
	v_add_f32_e32 v0, v2, v0
	v_fma_f32 v2, v44, s10, -v50
	v_mul_f32_e32 v53, 0xbf6f5d39, v86
	v_add_f32_e32 v1, v2, v1
	v_add_f32_e32 v47, v18, v24
	v_sub_f32_e32 v89, v24, v18
	v_mov_b32_e32 v2, v53
	s_mov_b32 s11, 0xbeb58ec6
	v_add_f32_e32 v48, v19, v25
	v_mul_f32_e32 v54, 0xbf6f5d39, v89
	v_fmac_f32_e32 v2, 0xbeb58ec6, v47
	v_sub_f32_e32 v90, v27, v17
	;; [unrolled: 12-line block ×3, first 2 shown]
	v_add_f32_e32 v0, v2, v0
	v_fma_f32 v2, v52, s16, -v58
	v_mul_f32_e32 v59, 0xbe750f2a, v98
	v_add_f32_e32 v1, v2, v1
	v_add_f32_e32 v55, v14, v12
	v_mov_b32_e32 v2, v59
	v_sub_f32_e32 v102, v12, v14
	s_mov_b32 s17, 0xbf788fa5
	v_fmac_f32_e32 v2, 0xbf788fa5, v55
	v_add_f32_e32 v57, v15, v13
	v_mul_f32_e32 v61, 0xbe750f2a, v102
	v_add_f32_e32 v33, v2, v0
	v_fma_f32 v0, v57, s17, -v61
	v_mul_f32_e32 v63, 0xbf52af12, v60
	v_add_f32_e32 v34, v0, v1
	v_mov_b32_e32 v0, v63
	v_mul_f32_e32 v64, 0xbf6f5d39, v65
	v_fmac_f32_e32 v0, 0x3f116cb1, v37
	v_mov_b32_e32 v1, v64
	v_add_f32_e32 v0, v0, v8
	v_fmac_f32_e32 v1, 0xbeb58ec6, v39
	v_mul_f32_e32 v68, 0xbf52af12, v62
	v_add_f32_e32 v0, v1, v0
	v_fma_f32 v1, v38, s9, -v68
	v_mul_f32_e32 v70, 0xbf6f5d39, v71
	v_add_f32_e32 v1, v1, v9
	v_fma_f32 v2, v41, s11, -v70
	v_mul_f32_e32 v66, 0xbe750f2a, v76
	v_add_f32_e32 v1, v2, v1
	v_mov_b32_e32 v2, v66
	v_fmac_f32_e32 v2, 0xbf788fa5, v43
	v_mul_f32_e32 v73, 0xbe750f2a, v78
	v_add_f32_e32 v0, v2, v0
	v_fma_f32 v2, v44, s17, -v73
	v_mul_f32_e32 v67, 0x3f29c268, v86
	v_add_f32_e32 v1, v2, v1
	v_mov_b32_e32 v2, v67
	v_fmac_f32_e32 v2, 0xbf3f9e67, v47
	;; [unrolled: 7-line block ×4, first 2 shown]
	v_mul_f32_e32 v77, 0x3eedf032, v102
	v_mul_f32_e32 v83, 0xbf7e222b, v60
	v_fma_f32 v3, v57, s8, -v77
	v_add_f32_e32 v2, v2, v0
	v_mov_b32_e32 v0, v83
	v_mul_f32_e32 v85, 0xbe750f2a, v65
	v_add_f32_e32 v3, v3, v1
	v_fmac_f32_e32 v0, 0x3df6dbef, v37
	v_mov_b32_e32 v1, v85
	v_add_f32_e32 v0, v0, v8
	v_fmac_f32_e32 v1, 0xbf788fa5, v39
	v_mul_f32_e32 v84, 0x3f6f5d39, v76
	v_add_f32_e32 v0, v1, v0
	v_mov_b32_e32 v1, v84
	v_fmac_f32_e32 v1, 0xbeb58ec6, v43
	v_mul_f32_e32 v81, 0x3eedf032, v86
	v_add_f32_e32 v0, v1, v0
	v_mov_b32_e32 v1, v81
	;; [unrolled: 4-line block ×4, first 2 shown]
	v_fmac_f32_e32 v1, 0xbf3f9e67, v55
	v_mul_f32_e32 v95, 0xbf7e222b, v62
	v_add_f32_e32 v0, v1, v0
	v_fma_f32 v1, v38, s10, -v95
	v_mul_f32_e32 v96, 0xbe750f2a, v71
	v_add_f32_e32 v1, v1, v9
	v_fma_f32 v4, v41, s17, -v96
	v_mul_f32_e32 v94, 0x3f6f5d39, v78
	v_add_f32_e32 v1, v4, v1
	v_fma_f32 v4, v44, s11, -v94
	v_mul_f32_e32 v93, 0x3eedf032, v89
	v_add_f32_e32 v1, v4, v1
	v_fma_f32 v4, v48, s8, -v93
	v_mul_f32_e32 v92, 0xbf52af12, v97
	v_add_f32_e32 v1, v4, v1
	v_fma_f32 v4, v52, s9, -v92
	v_mul_f32_e32 v91, 0xbf29c268, v102
	v_add_f32_e32 v1, v4, v1
	v_fma_f32 v4, v57, s16, -v91
	v_mul_f32_e32 v99, 0xbf6f5d39, v60
	v_add_f32_e32 v1, v4, v1
	v_mov_b32_e32 v4, v99
	v_mul_f32_e32 v100, 0x3f29c268, v65
	v_fmac_f32_e32 v4, 0xbeb58ec6, v37
	v_mov_b32_e32 v5, v100
	v_add_f32_e32 v4, v4, v8
	v_fmac_f32_e32 v5, 0xbf3f9e67, v39
	v_mul_f32_e32 v106, 0xbf6f5d39, v62
	v_add_f32_e32 v4, v5, v4
	v_fma_f32 v5, v38, s11, -v106
	v_mul_f32_e32 v107, 0x3f29c268, v71
	v_add_f32_e32 v5, v5, v9
	v_fma_f32 v6, v41, s16, -v107
	v_mul_f32_e32 v101, 0x3eedf032, v76
	v_add_f32_e32 v5, v6, v5
	v_mov_b32_e32 v6, v101
	v_fmac_f32_e32 v6, 0x3f62ad3f, v43
	v_mul_f32_e32 v108, 0x3eedf032, v78
	v_add_f32_e32 v4, v6, v4
	v_fma_f32 v6, v44, s8, -v108
	v_mul_f32_e32 v103, 0xbf7e222b, v86
	v_add_f32_e32 v5, v6, v5
	v_mov_b32_e32 v6, v103
	v_fmac_f32_e32 v6, 0x3df6dbef, v47
	;; [unrolled: 7-line block ×4, first 2 shown]
	v_mul_f32_e32 v111, 0x3f52af12, v102
	v_mul_f32_e32 v112, 0xbf29c268, v60
	v_fma_f32 v7, v57, s9, -v111
	v_add_f32_e32 v6, v6, v4
	v_mov_b32_e32 v4, v112
	v_mul_f32_e32 v117, 0x3f7e222b, v65
	v_add_f32_e32 v7, v7, v5
	v_fmac_f32_e32 v4, 0xbf3f9e67, v37
	v_mov_b32_e32 v5, v117
	v_add_f32_e32 v4, v4, v8
	v_fmac_f32_e32 v5, 0x3df6dbef, v39
	v_mul_f32_e32 v113, 0xbf52af12, v76
	v_add_f32_e32 v4, v5, v4
	v_mov_b32_e32 v5, v113
	v_fmac_f32_e32 v5, 0x3f116cb1, v43
	v_mul_f32_e32 v114, 0x3e750f2a, v86
	v_add_f32_e32 v4, v5, v4
	v_mov_b32_e32 v5, v114
	;; [unrolled: 4-line block ×4, first 2 shown]
	v_fmac_f32_e32 v5, 0xbeb58ec6, v55
	v_mul_f32_e32 v122, 0xbf29c268, v62
	v_add_f32_e32 v4, v5, v4
	v_fma_f32 v5, v38, s16, -v122
	v_mul_f32_e32 v123, 0x3f7e222b, v71
	v_add_f32_e32 v5, v5, v9
	v_fma_f32 v82, v41, s10, -v123
	v_mul_f32_e32 v121, 0xbf52af12, v78
	v_add_f32_e32 v5, v82, v5
	v_fma_f32 v82, v44, s9, -v121
	v_mul_f32_e32 v120, 0x3e750f2a, v89
	v_add_f32_e32 v5, v82, v5
	v_fma_f32 v82, v48, s17, -v120
	v_mul_f32_e32 v119, 0x3eedf032, v97
	v_add_f32_e32 v5, v82, v5
	v_fma_f32 v82, v52, s8, -v119
	v_mul_f32_e32 v118, 0xbf6f5d39, v102
	v_add_f32_e32 v5, v82, v5
	v_fma_f32 v82, v57, s11, -v118
	v_add_f32_e32 v5, v82, v5
	v_mul_lo_u16_e32 v82, 13, v80
	s_barrier
	s_and_saveexec_b64 s[4:5], s[0:1]
	s_cbranch_execz .LBB0_7
; %bb.6:
	v_mul_f32_e32 v62, 0xbe750f2a, v62
	v_mov_b32_e32 v124, v62
	v_mul_f32_e32 v71, 0x3eedf032, v71
	v_fmac_f32_e32 v124, 0xbf788fa5, v38
	v_mov_b32_e32 v125, v71
	v_add_f32_e32 v124, v124, v9
	v_fmac_f32_e32 v125, 0x3f62ad3f, v41
	v_mul_f32_e32 v78, 0xbf29c268, v78
	v_add_f32_e32 v124, v125, v124
	v_mov_b32_e32 v125, v78
	v_fmac_f32_e32 v125, 0xbf3f9e67, v44
	v_add_f32_e32 v124, v125, v124
	v_mul_f32_e32 v125, 0x3f52af12, v89
	v_mov_b32_e32 v89, v125
	v_fmac_f32_e32 v89, 0x3f116cb1, v48
	v_add_f32_e32 v89, v89, v124
	v_mul_f32_e32 v124, 0xbf6f5d39, v97
	v_mov_b32_e32 v97, v124
	v_fmac_f32_e32 v97, 0xbeb58ec6, v52
	v_mul_f32_e32 v60, 0xbe750f2a, v60
	v_add_f32_e32 v89, v97, v89
	v_fma_f32 v97, v37, s17, -v60
	v_mul_f32_e32 v126, 0x3eedf032, v65
	v_add_f32_e32 v97, v97, v8
	v_fma_f32 v65, v39, s8, -v126
	;; [unrolled: 3-line block ×4, first 2 shown]
	v_mul_f32_e32 v127, 0xbf6f5d39, v90
	v_mul_f32_e32 v102, 0x3f7e222b, v102
	v_add_f32_e32 v65, v97, v65
	v_fma_f32 v90, v51, s11, -v127
	v_add_f32_e32 v65, v90, v65
	v_mov_b32_e32 v90, v102
	v_fmac_f32_e32 v90, 0x3df6dbef, v57
	v_mul_f32_e32 v128, 0x3f7e222b, v98
	v_add_f32_e32 v90, v90, v89
	v_fma_f32 v89, v55, s10, -v128
	v_add_f32_e32 v89, v89, v65
	v_mul_f32_e32 v65, 0xbf3f9e67, v38
	v_add_f32_e32 v65, v122, v65
	v_mul_f32_e32 v97, 0x3df6dbef, v41
	v_mul_f32_e32 v98, 0xbf3f9e67, v37
	v_add_f32_e32 v97, v123, v97
	v_add_f32_e32 v65, v65, v9
	v_sub_f32_e32 v98, v98, v112
	v_mul_f32_e32 v112, 0x3df6dbef, v39
	v_add_f32_e32 v65, v97, v65
	v_mul_f32_e32 v97, 0x3f116cb1, v44
	v_sub_f32_e32 v112, v112, v117
	v_add_f32_e32 v98, v98, v8
	v_add_f32_e32 v97, v121, v97
	;; [unrolled: 1-line block ×3, first 2 shown]
	v_mul_f32_e32 v112, 0x3f116cb1, v43
	v_add_f32_e32 v65, v97, v65
	v_mul_f32_e32 v97, 0xbf788fa5, v48
	v_sub_f32_e32 v112, v112, v113
	v_add_f32_e32 v97, v120, v97
	v_add_f32_e32 v98, v112, v98
	v_mul_f32_e32 v112, 0xbf788fa5, v47
	v_add_f32_e32 v65, v97, v65
	v_mul_f32_e32 v97, 0x3f62ad3f, v52
	v_sub_f32_e32 v112, v112, v114
	v_add_f32_e32 v97, v119, v97
	v_add_f32_e32 v98, v112, v98
	v_mul_f32_e32 v112, 0x3f62ad3f, v51
	v_add_f32_e32 v65, v97, v65
	v_mul_f32_e32 v97, 0xbeb58ec6, v57
	v_sub_f32_e32 v112, v112, v115
	v_add_f32_e32 v97, v118, v97
	v_mul_f32_e32 v115, 0xbeb58ec6, v38
	v_add_f32_e32 v112, v112, v98
	v_mul_f32_e32 v98, 0xbeb58ec6, v55
	v_sub_f32_e32 v116, v98, v116
	v_add_f32_e32 v98, v97, v65
	v_add_f32_e32 v65, v106, v115
	v_mul_f32_e32 v106, 0xbf3f9e67, v41
	v_add_f32_e32 v106, v107, v106
	v_add_f32_e32 v65, v65, v9
	v_add_f32_e32 v65, v106, v65
	v_mul_f32_e32 v106, 0x3f62ad3f, v44
	v_add_f32_e32 v106, v108, v106
	v_add_f32_e32 v65, v106, v65
	v_mul_f32_e32 v106, 0x3df6dbef, v48
	v_add_f32_e32 v106, v109, v106
	v_mul_f32_e32 v114, 0xbeb58ec6, v37
	;; [unrolled: 2-line block ×4, first 2 shown]
	v_sub_f32_e32 v99, v114, v99
	v_sub_f32_e32 v100, v110, v100
	v_add_f32_e32 v99, v99, v8
	v_add_f32_e32 v99, v100, v99
	v_mul_f32_e32 v100, 0x3f62ad3f, v43
	v_sub_f32_e32 v100, v100, v101
	v_add_f32_e32 v99, v100, v99
	v_mul_f32_e32 v100, 0x3df6dbef, v47
	v_sub_f32_e32 v100, v100, v103
	v_add_f32_e32 v99, v100, v99
	v_mul_f32_e32 v100, 0xbf788fa5, v51
	v_add_f32_e32 v65, v106, v65
	v_mul_f32_e32 v106, 0x3f116cb1, v57
	v_sub_f32_e32 v100, v100, v104
	v_mul_f32_e32 v113, 0x3df6dbef, v38
	v_add_f32_e32 v106, v111, v106
	v_add_f32_e32 v99, v100, v99
	v_mul_f32_e32 v100, 0x3f116cb1, v55
	v_mul_f32_e32 v109, 0xbf788fa5, v41
	v_sub_f32_e32 v105, v100, v105
	v_add_f32_e32 v100, v106, v65
	v_add_f32_e32 v65, v95, v113
	v_mul_f32_e32 v104, 0xbeb58ec6, v44
	v_add_f32_e32 v96, v96, v109
	v_add_f32_e32 v65, v65, v9
	v_add_f32_e32 v65, v96, v65
	v_mul_f32_e32 v96, 0x3f62ad3f, v48
	v_add_f32_e32 v94, v94, v104
	;; [unrolled: 4-line block ×3, first 2 shown]
	v_mul_f32_e32 v93, 0x3f116cb1, v52
	v_mul_f32_e32 v121, 0x3f62ad3f, v38
	v_mul_f32_e32 v108, 0xbf788fa5, v39
	v_add_f32_e32 v92, v92, v93
	v_sub_f32_e32 v83, v117, v83
	v_add_f32_e32 v97, v116, v112
	v_mul_f32_e32 v112, 0x3f116cb1, v41
	v_mul_f32_e32 v103, 0xbeb58ec6, v43
	v_add_f32_e32 v65, v92, v65
	v_mul_f32_e32 v92, 0xbf3f9e67, v57
	v_sub_f32_e32 v85, v108, v85
	v_add_f32_e32 v83, v83, v8
	v_add_f32_e32 v42, v42, v121
	;; [unrolled: 1-line block ×4, first 2 shown]
	v_mul_f32_e32 v114, 0x3df6dbef, v44
	v_mul_f32_e32 v109, 0x3f62ad3f, v47
	v_add_f32_e32 v91, v91, v92
	v_add_f32_e32 v83, v85, v83
	v_sub_f32_e32 v84, v103, v84
	v_add_f32_e32 v42, v42, v9
	v_add_f32_e32 v46, v46, v112
	;; [unrolled: 1-line block ×5, first 2 shown]
	v_mul_f32_e32 v105, 0xbeb58ec6, v48
	v_mul_f32_e32 v92, 0x3f116cb1, v51
	v_add_f32_e32 v83, v84, v83
	v_add_f32_e32 v84, v91, v65
	v_sub_f32_e32 v65, v109, v81
	v_add_f32_e32 v42, v46, v42
	v_add_f32_e32 v46, v50, v114
	;; [unrolled: 1-line block ×4, first 2 shown]
	v_mul_f32_e32 v94, 0xbf3f9e67, v52
	v_mul_f32_e32 v117, 0xbf3f9e67, v55
	v_add_f32_e32 v65, v65, v83
	v_sub_f32_e32 v81, v92, v87
	v_add_f32_e32 v42, v46, v42
	v_add_f32_e32 v46, v54, v105
	v_add_f32_e32 v11, v25, v11
	v_add_f32_e32 v10, v24, v10
	v_mul_f32_e32 v122, 0x3f62ad3f, v37
	v_mul_f32_e32 v119, 0x3f116cb1, v38
	;; [unrolled: 1-line block ×3, first 2 shown]
	v_add_f32_e32 v65, v81, v65
	v_sub_f32_e32 v81, v117, v88
	v_add_f32_e32 v42, v46, v42
	v_add_f32_e32 v46, v58, v94
	;; [unrolled: 1-line block ×4, first 2 shown]
	v_mul_f32_e32 v120, 0x3f116cb1, v37
	v_mul_f32_e32 v118, 0x3f116cb1, v39
	v_add_f32_e32 v83, v81, v65
	v_add_f32_e32 v65, v68, v119
	;; [unrolled: 1-line block ×4, first 2 shown]
	v_sub_f32_e32 v40, v122, v40
	v_add_f32_e32 v11, v13, v11
	v_add_f32_e32 v10, v12, v10
	v_fma_f32 v12, v38, s17, -v62
	v_mul_f32_e32 v116, 0xbeb58ec6, v39
	v_mul_f32_e32 v107, 0xbeb58ec6, v41
	;; [unrolled: 1-line block ×3, first 2 shown]
	v_add_f32_e32 v65, v65, v9
	v_sub_f32_e32 v63, v120, v63
	v_add_f32_e32 v46, v46, v42
	v_add_f32_e32 v40, v40, v8
	v_sub_f32_e32 v42, v118, v45
	v_add_f32_e32 v11, v15, v11
	v_add_f32_e32 v10, v14, v10
	;; [unrolled: 1-line block ×3, first 2 shown]
	v_fma_f32 v12, v41, s8, -v71
	v_fmac_f32_e32 v60, 0xbf788fa5, v37
	v_mul_f32_e32 v110, 0xbf788fa5, v43
	v_mul_f32_e32 v101, 0xbf788fa5, v44
	;; [unrolled: 1-line block ×3, first 2 shown]
	v_add_f32_e32 v68, v70, v107
	v_add_f32_e32 v63, v63, v8
	v_sub_f32_e32 v64, v116, v64
	v_add_f32_e32 v40, v42, v40
	v_sub_f32_e32 v42, v111, v49
	v_add_f32_e32 v11, v17, v11
	v_add_f32_e32 v10, v16, v10
	;; [unrolled: 1-line block ×3, first 2 shown]
	v_fma_f32 v12, v44, s16, -v78
	v_add_f32_e32 v8, v60, v8
	v_fmac_f32_e32 v126, 0x3f62ad3f, v39
	v_mul_f32_e32 v106, 0xbf3f9e67, v47
	v_mul_f32_e32 v95, 0xbf3f9e67, v48
	;; [unrolled: 1-line block ×3, first 2 shown]
	v_add_f32_e32 v65, v68, v65
	v_add_f32_e32 v68, v73, v101
	;; [unrolled: 1-line block ×3, first 2 shown]
	v_sub_f32_e32 v64, v110, v66
	v_add_f32_e32 v40, v42, v40
	v_sub_f32_e32 v42, v115, v53
	v_add_f32_e32 v11, v19, v11
	v_add_f32_e32 v10, v18, v10
	;; [unrolled: 1-line block ×3, first 2 shown]
	v_fma_f32 v12, v48, s9, -v125
	v_add_f32_e32 v8, v126, v8
	v_fmac_f32_e32 v76, 0xbf3f9e67, v43
	v_mul_f32_e32 v96, 0x3df6dbef, v51
	v_mul_f32_e32 v93, 0x3df6dbef, v52
	;; [unrolled: 1-line block ×3, first 2 shown]
	v_add_f32_e32 v65, v68, v65
	v_add_f32_e32 v68, v74, v95
	;; [unrolled: 1-line block ×3, first 2 shown]
	v_sub_f32_e32 v64, v106, v67
	v_add_f32_e32 v40, v42, v40
	v_sub_f32_e32 v42, v104, v56
	v_add_f32_e32 v11, v29, v11
	v_add_f32_e32 v10, v28, v10
	;; [unrolled: 1-line block ×3, first 2 shown]
	v_fma_f32 v12, v52, s11, -v124
	v_add_f32_e32 v8, v76, v8
	v_fmac_f32_e32 v86, 0x3f116cb1, v47
	v_mul_f32_e32 v85, 0x3f62ad3f, v55
	v_mul_f32_e32 v103, 0x3f62ad3f, v57
	v_add_f32_e32 v65, v68, v65
	v_add_f32_e32 v68, v75, v93
	;; [unrolled: 1-line block ×3, first 2 shown]
	v_sub_f32_e32 v64, v96, v69
	v_add_f32_e32 v40, v42, v40
	v_sub_f32_e32 v42, v113, v59
	v_add_f32_e32 v11, v31, v11
	v_add_f32_e32 v10, v30, v10
	;; [unrolled: 1-line block ×3, first 2 shown]
	v_fma_f32 v12, v57, s10, -v102
	v_add_f32_e32 v8, v86, v8
	v_fmac_f32_e32 v127, 0xbeb58ec6, v51
	v_add_f32_e32 v65, v68, v65
	v_add_f32_e32 v68, v77, v103
	;; [unrolled: 1-line block ×3, first 2 shown]
	v_sub_f32_e32 v64, v85, v72
	v_add_f32_e32 v45, v42, v40
	v_add_f32_e32 v11, v36, v11
	;; [unrolled: 1-line block ×5, first 2 shown]
	v_fmac_f32_e32 v128, 0x3df6dbef, v55
	v_lshlrev_b32_e32 v12, 3, v82
	v_add_f32_e32 v65, v68, v65
	v_add_f32_e32 v64, v64, v63
	;; [unrolled: 1-line block ×3, first 2 shown]
	ds_write2_b64 v12, v[10:11], v[45:46] offset1:1
	ds_write2_b64 v12, v[64:65], v[83:84] offset0:2 offset1:3
	ds_write2_b64 v12, v[99:100], v[97:98] offset0:4 offset1:5
	;; [unrolled: 1-line block ×5, first 2 shown]
	ds_write_b64 v12, v[33:34] offset:96
.LBB0_7:
	s_or_b64 exec, exec, s[4:5]
	s_movk_i32 s8, 0x4f
	v_add_co_u32_e32 v28, vcc, 0xd0, v80
	v_mul_lo_u16_sdwa v26, v80, s8 dst_sel:DWORD dst_unused:UNUSED_PAD src0_sel:BYTE_0 src1_sel:DWORD
	s_movk_i32 s8, 0x4ec5
	v_lshrrev_b16_e32 v27, 10, v26
	v_mul_u32_u24_sdwa v30, v28, s8 dst_sel:DWORD dst_unused:UNUSED_PAD src0_sel:WORD_0 src1_sel:DWORD
	v_mul_lo_u16_e32 v8, 13, v27
	v_lshrrev_b32_e32 v31, 18, v30
	v_add_u32_e32 v17, 0x1a0, v80
	v_add_u32_e32 v16, 0x270, v80
	v_sub_u16_e32 v8, v80, v8
	v_mul_lo_u16_e32 v9, 13, v31
	v_and_b32_e32 v29, 0xff, v8
	v_sub_u16_e32 v43, v28, v9
	v_mul_u32_u24_sdwa v59, v17, s8 dst_sel:DWORD dst_unused:UNUSED_PAD src0_sel:WORD_0 src1_sel:DWORD
	v_mul_u32_u24_sdwa v60, v16, s8 dst_sel:DWORD dst_unused:UNUSED_PAD src0_sel:WORD_0 src1_sel:DWORD
	v_lshlrev_b32_e32 v8, 3, v29
	v_lshlrev_b32_e32 v9, 3, v43
	v_lshrrev_b32_e32 v44, 18, v59
	v_lshrrev_b32_e32 v46, 18, v60
	s_load_dwordx4 s[4:7], s[6:7], 0x0
	s_waitcnt lgkmcnt(0)
	s_barrier
	v_mul_lo_u16_e32 v10, 13, v44
	global_load_dwordx2 v[41:42], v8, s[2:3]
	global_load_dwordx2 v[39:40], v9, s[2:3]
	v_mul_lo_u16_e32 v8, 13, v46
	v_sub_u16_e32 v45, v17, v10
	v_sub_u16_e32 v47, v16, v8
	v_lshlrev_b32_e32 v10, 3, v45
	v_lshlrev_b32_e32 v8, 3, v47
	global_load_dwordx2 v[37:38], v10, s[2:3]
	global_load_dwordx2 v[35:36], v8, s[2:3]
	v_mov_b32_e32 v8, 3
	v_lshlrev_b32_sdwa v81, v8, v80 dst_sel:DWORD dst_unused:UNUSED_PAD src0_sel:DWORD src1_sel:WORD_0
	v_add_u32_e32 v75, 0x1a00, v81
	ds_read2_b64 v[8:11], v81 offset1:208
	v_add_u32_e32 v73, 0xc00, v81
	v_add_u32_e32 v74, 0x2600, v81
	ds_read2_b64 v[12:15], v75 offset1:208
	ds_read2_b64 v[18:21], v73 offset0:32 offset1:240
	ds_read2_b64 v[22:25], v74 offset0:32 offset1:240
	v_mul_u32_u24_e32 v27, 26, v27
	v_mad_legacy_u16 v31, v31, 26, v43
	v_mad_legacy_u16 v43, v44, 26, v45
	;; [unrolled: 1-line block ×3, first 2 shown]
	v_add_lshl_u32 v86, v27, v29, 3
	v_lshlrev_b32_e32 v85, 3, v31
	v_lshlrev_b32_e32 v84, 3, v43
	;; [unrolled: 1-line block ×3, first 2 shown]
	s_waitcnt vmcnt(0) lgkmcnt(0)
	s_barrier
	v_mov_b32_e32 v61, s3
	v_mul_f32_e32 v27, v13, v42
	v_mul_f32_e32 v29, v12, v42
	;; [unrolled: 1-line block ×4, first 2 shown]
	v_fma_f32 v12, v12, v41, -v27
	v_fmac_f32_e32 v29, v13, v41
	v_fma_f32 v14, v14, v39, -v31
	v_mul_f32_e32 v44, v23, v38
	v_mul_f32_e32 v45, v22, v38
	;; [unrolled: 1-line block ×4, first 2 shown]
	v_fmac_f32_e32 v43, v15, v39
	v_fma_f32 v22, v22, v37, -v44
	v_fmac_f32_e32 v45, v23, v37
	v_fma_f32 v24, v24, v35, -v46
	v_fmac_f32_e32 v47, v25, v35
	v_sub_f32_e32 v12, v8, v12
	v_sub_f32_e32 v13, v9, v29
	;; [unrolled: 1-line block ×8, first 2 shown]
	v_fma_f32 v8, v8, 2.0, -v12
	v_fma_f32 v9, v9, 2.0, -v13
	;; [unrolled: 1-line block ×8, first 2 shown]
	ds_write2_b64 v86, v[8:9], v[12:13] offset1:13
	ds_write2_b64 v85, v[10:11], v[14:15] offset1:13
	;; [unrolled: 1-line block ×4, first 2 shown]
	v_lshrrev_b16_e32 v8, 11, v26
	v_mul_lo_u16_e32 v9, 26, v8
	v_lshrrev_b32_e32 v11, 19, v30
	v_lshrrev_b32_e32 v14, 19, v59
	v_sub_u16_e32 v9, v80, v9
	v_mul_lo_u16_e32 v12, 26, v11
	v_mul_lo_u16_e32 v15, 26, v14
	v_and_b32_e32 v9, 0xff, v9
	v_sub_u16_e32 v12, v28, v12
	v_sub_u16_e32 v15, v17, v15
	v_lshlrev_b32_e32 v10, 3, v9
	v_lshlrev_b32_e32 v13, 3, v12
	v_lshlrev_b32_e32 v18, 3, v15
	v_lshrrev_b32_e32 v19, 19, v60
	s_waitcnt lgkmcnt(0)
	s_barrier
	global_load_dwordx2 v[49:50], v10, s[2:3] offset:104
	global_load_dwordx2 v[47:48], v13, s[2:3] offset:104
	;; [unrolled: 1-line block ×3, first 2 shown]
	v_mul_lo_u16_e32 v10, 26, v19
	v_sub_u16_e32 v10, v16, v10
	v_lshlrev_b32_e32 v13, 3, v10
	global_load_dwordx2 v[43:44], v13, s[2:3] offset:104
	v_lshrrev_b16_e32 v29, 12, v26
	v_mul_lo_u16_e32 v13, 52, v29
	v_mul_u32_u24_e32 v8, 52, v8
	v_sub_u16_e32 v13, v80, v13
	v_mad_legacy_u16 v11, v11, 52, v12
	v_mad_legacy_u16 v12, v14, 52, v15
	v_mad_legacy_u16 v10, v19, 52, v10
	v_and_b32_e32 v31, 0xff, v13
	v_add_lshl_u32 v90, v8, v9, 3
	v_lshlrev_b32_e32 v89, 3, v11
	v_lshlrev_b32_e32 v88, 3, v12
	;; [unrolled: 1-line block ×3, first 2 shown]
	ds_read2_b64 v[8:11], v81 offset1:208
	ds_read2_b64 v[12:15], v75 offset1:208
	ds_read2_b64 v[18:21], v73 offset0:32 offset1:240
	ds_read2_b64 v[22:25], v74 offset0:32 offset1:240
	s_waitcnt vmcnt(0) lgkmcnt(0)
	s_barrier
	v_mad_u64_u32 v[26:27], s[8:9], v31, 24, s[2:3]
	s_movk_i32 s8, 0xd0
	v_mul_f32_e32 v51, v13, v50
	v_mul_f32_e32 v52, v12, v50
	;; [unrolled: 1-line block ×8, first 2 shown]
	v_fma_f32 v12, v12, v49, -v51
	v_fmac_f32_e32 v52, v13, v49
	v_fma_f32 v24, v24, v43, -v57
	v_fma_f32 v14, v14, v47, -v53
	v_fmac_f32_e32 v54, v15, v47
	v_fma_f32 v22, v22, v45, -v55
	v_fmac_f32_e32 v56, v23, v45
	v_fmac_f32_e32 v58, v25, v43
	v_sub_f32_e32 v12, v8, v12
	v_sub_f32_e32 v13, v9, v52
	;; [unrolled: 1-line block ×8, first 2 shown]
	v_fma_f32 v8, v8, 2.0, -v12
	v_fma_f32 v9, v9, 2.0, -v13
	;; [unrolled: 1-line block ×8, first 2 shown]
	ds_write2_b64 v90, v[8:9], v[12:13] offset1:26
	ds_write2_b64 v89, v[10:11], v[14:15] offset1:26
	;; [unrolled: 1-line block ×4, first 2 shown]
	v_lshrrev_b32_e32 v20, 20, v30
	v_mul_lo_u16_e32 v12, 52, v20
	v_sub_u16_e32 v21, v28, v12
	v_mul_lo_u16_e32 v12, 24, v21
	v_add_co_u32_e32 v18, vcc, s2, v12
	v_addc_co_u32_e32 v19, vcc, 0, v61, vcc
	s_waitcnt lgkmcnt(0)
	s_barrier
	global_load_dwordx2 v[51:52], v[26:27], off offset:328
	global_load_dwordx4 v[8:11], v[26:27], off offset:312
	global_load_dwordx4 v[12:15], v[18:19], off offset:312
	global_load_dwordx2 v[53:54], v[18:19], off offset:328
	v_mul_u32_u24_e32 v18, 0xd0, v29
	v_mad_legacy_u16 v19, v20, s8, v21
	v_add_lshl_u32 v92, v18, v31, 3
	v_lshlrev_b32_e32 v91, 3, v19
	ds_read2_b64 v[18:21], v81 offset1:208
	ds_read2_b64 v[22:25], v73 offset0:32 offset1:240
	ds_read2_b64 v[26:29], v75 offset1:208
	ds_read2_b64 v[55:58], v74 offset0:32 offset1:240
	s_waitcnt vmcnt(0) lgkmcnt(0)
	s_barrier
	s_movk_i32 s8, 0x1000
	v_mul_f32_e32 v64, v56, v52
	v_mul_f32_e32 v30, v23, v9
	;; [unrolled: 1-line block ×12, first 2 shown]
	v_fma_f32 v22, v22, v8, -v30
	v_fmac_f32_e32 v31, v23, v8
	v_fma_f32 v23, v26, v10, -v62
	v_fmac_f32_e32 v63, v27, v10
	;; [unrolled: 2-line block ×6, first 2 shown]
	v_sub_f32_e32 v28, v18, v23
	v_sub_f32_e32 v29, v19, v63
	;; [unrolled: 1-line block ×8, first 2 shown]
	v_fma_f32 v56, v18, 2.0, -v28
	v_fma_f32 v57, v19, 2.0, -v29
	;; [unrolled: 1-line block ×4, first 2 shown]
	v_sub_f32_e32 v18, v28, v26
	v_fma_f32 v58, v20, 2.0, -v30
	v_fma_f32 v62, v21, 2.0, -v55
	;; [unrolled: 1-line block ×4, first 2 shown]
	v_add_f32_e32 v19, v29, v23
	v_sub_f32_e32 v20, v30, v27
	v_add_f32_e32 v21, v55, v25
	v_sub_f32_e32 v22, v56, v22
	v_sub_f32_e32 v23, v57, v31
	;; [unrolled: 1-line block ×4, first 2 shown]
	v_fma_f32 v24, v28, 2.0, -v18
	v_fma_f32 v25, v29, 2.0, -v19
	v_fma_f32 v28, v30, 2.0, -v20
	v_fma_f32 v29, v55, 2.0, -v21
	v_fma_f32 v30, v56, 2.0, -v22
	v_fma_f32 v31, v57, 2.0, -v23
	v_fma_f32 v55, v58, 2.0, -v26
	v_fma_f32 v56, v62, 2.0, -v27
	ds_write2_b64 v92, v[22:23], v[18:19] offset0:104 offset1:156
	ds_write2_b64 v92, v[30:31], v[24:25] offset1:52
	ds_write2_b64 v91, v[55:56], v[28:29] offset1:52
	ds_write2_b64 v91, v[26:27], v[20:21] offset0:104 offset1:156
	v_lshrrev_b32_e32 v18, 22, v59
	v_mul_lo_u16_e32 v18, 0xd0, v18
	v_sub_u16_e32 v17, v17, v18
	v_lshlrev_b32_e32 v93, 3, v17
	v_lshrrev_b32_e32 v17, 22, v60
	v_mul_lo_u16_e32 v17, 0xd0, v17
	v_sub_u16_e32 v16, v16, v17
	v_lshlrev_b32_e32 v62, 3, v80
	v_lshlrev_b32_e32 v94, 3, v16
	s_waitcnt lgkmcnt(0)
	s_barrier
	global_load_dwordx2 v[57:58], v62, s[2:3] offset:1560
	global_load_dwordx2 v[55:56], v93, s[2:3] offset:1560
	;; [unrolled: 1-line block ×3, first 2 shown]
	ds_read2_b64 v[16:19], v81 offset1:208
	ds_read2_b64 v[20:23], v75 offset1:208
	ds_read2_b64 v[24:27], v73 offset0:32 offset1:240
	ds_read2_b64 v[28:31], v74 offset0:32 offset1:240
	v_add_co_u32_e32 v67, vcc, s2, v62
	v_addc_co_u32_e32 v68, vcc, 0, v61, vcc
	v_add_u32_e32 v61, 0x1a00, v93
	v_add_u32_e32 v63, 0x2600, v94
	s_waitcnt vmcnt(0) lgkmcnt(0)
	s_barrier
	v_mul_f32_e32 v64, v21, v58
	v_mul_f32_e32 v65, v20, v58
	v_mul_f32_e32 v66, v23, v58
	v_mul_f32_e32 v69, v22, v58
	v_mul_f32_e32 v70, v29, v56
	v_mul_f32_e32 v71, v28, v56
	v_mul_f32_e32 v72, v31, v60
	v_mul_f32_e32 v76, v30, v60
	v_fma_f32 v20, v20, v57, -v64
	v_fmac_f32_e32 v65, v21, v57
	v_fma_f32 v22, v22, v57, -v66
	v_fmac_f32_e32 v69, v23, v57
	;; [unrolled: 2-line block ×4, first 2 shown]
	v_sub_f32_e32 v20, v16, v20
	v_sub_f32_e32 v21, v17, v65
	;; [unrolled: 1-line block ×8, first 2 shown]
	v_fma_f32 v16, v16, 2.0, -v20
	v_fma_f32 v17, v17, 2.0, -v21
	v_add_co_u32_e32 v65, vcc, s8, v67
	v_fma_f32 v18, v18, 2.0, -v22
	v_fma_f32 v19, v19, 2.0, -v23
	;; [unrolled: 1-line block ×6, first 2 shown]
	ds_write2_b64 v81, v[16:17], v[20:21] offset1:208
	ds_write2_b64 v73, v[18:19], v[22:23] offset0:32 offset1:240
	ds_write2_b64 v61, v[24:25], v[28:29] offset1:208
	ds_write2_b64 v63, v[26:27], v[30:31] offset0:32 offset1:240
	s_waitcnt lgkmcnt(0)
	s_barrier
	global_load_dwordx2 v[61:62], v62, s[2:3] offset:3224
	v_addc_co_u32_e32 v66, vcc, 0, v68, vcc
	global_load_dwordx2 v[63:64], v[65:66], off offset:792
	ds_read2_b64 v[16:19], v81 offset1:208
	ds_read2_b64 v[20:23], v75 offset1:208
	ds_read2_b64 v[24:27], v73 offset0:32 offset1:240
	ds_read2_b64 v[28:31], v74 offset0:32 offset1:240
	s_movk_i32 s2, 0x2000
	s_waitcnt vmcnt(0) lgkmcnt(0)
	s_barrier
	v_mul_f32_e32 v69, v21, v62
	v_mul_f32_e32 v70, v20, v62
	;; [unrolled: 1-line block ×8, first 2 shown]
	v_fma_f32 v20, v20, v61, -v69
	v_fmac_f32_e32 v70, v21, v61
	v_fma_f32 v22, v22, v63, -v71
	v_fmac_f32_e32 v72, v23, v63
	;; [unrolled: 2-line block ×4, first 2 shown]
	v_sub_f32_e32 v20, v16, v20
	v_sub_f32_e32 v21, v17, v70
	;; [unrolled: 1-line block ×8, first 2 shown]
	v_fma_f32 v16, v16, 2.0, -v20
	v_fma_f32 v17, v17, 2.0, -v21
	;; [unrolled: 1-line block ×8, first 2 shown]
	ds_write2_b64 v73, v[20:21], v[22:23] offset0:32 offset1:240
	ds_write2_b64 v74, v[28:29], v[30:31] offset0:32 offset1:240
	ds_write2_b64 v81, v[16:17], v[18:19] offset1:208
	ds_write2_b64 v75, v[24:25], v[26:27] offset1:208
	v_add_co_u32_e32 v16, vcc, s2, v67
	v_addc_co_u32_e32 v17, vcc, 0, v68, vcc
	s_waitcnt lgkmcnt(0)
	s_barrier
	global_load_dwordx2 v[65:66], v[65:66], off offset:2456
	s_nop 0
	global_load_dwordx2 v[67:68], v[16:17], off offset:24
	global_load_dwordx2 v[69:70], v[16:17], off offset:1688
	;; [unrolled: 1-line block ×3, first 2 shown]
	ds_read2_b64 v[16:19], v75 offset1:208
	ds_read2_b64 v[95:98], v81 offset1:208
	ds_read2_b64 v[99:102], v73 offset0:32 offset1:240
	ds_read2_b64 v[20:23], v74 offset0:32 offset1:240
	s_waitcnt vmcnt(2) lgkmcnt(3)
	v_mul_f32_e32 v26, v19, v68
	v_mul_f32_e32 v24, v17, v66
	;; [unrolled: 1-line block ×4, first 2 shown]
	s_waitcnt vmcnt(1) lgkmcnt(0)
	v_mul_f32_e32 v28, v21, v70
	v_mul_f32_e32 v29, v20, v70
	s_waitcnt vmcnt(0)
	v_mul_f32_e32 v30, v23, v72
	v_mul_f32_e32 v76, v22, v72
	v_fma_f32 v16, v16, v65, -v24
	v_fmac_f32_e32 v25, v17, v65
	v_fma_f32 v17, v18, v67, -v26
	v_fmac_f32_e32 v27, v19, v67
	;; [unrolled: 2-line block ×4, first 2 shown]
	v_sub_f32_e32 v18, v95, v16
	v_sub_f32_e32 v19, v96, v25
	;; [unrolled: 1-line block ×8, first 2 shown]
	v_fma_f32 v16, v95, 2.0, -v18
	v_fma_f32 v17, v96, 2.0, -v19
	v_fma_f32 v28, v97, 2.0, -v30
	v_fma_f32 v29, v98, 2.0, -v31
	v_fma_f32 v24, v99, 2.0, -v26
	v_fma_f32 v25, v100, 2.0, -v27
	v_fma_f32 v20, v101, 2.0, -v22
	v_fma_f32 v21, v102, 2.0, -v23
	ds_write2_b64 v75, v[18:19], v[30:31] offset1:208
	ds_write2_b64 v74, v[26:27], v[22:23] offset0:32 offset1:240
	ds_write2_b64 v81, v[16:17], v[28:29] offset1:208
	ds_write2_b64 v73, v[24:25], v[20:21] offset0:32 offset1:240
	s_waitcnt lgkmcnt(0)
	s_barrier
	s_and_saveexec_b64 s[2:3], s[0:1]
	s_cbranch_execz .LBB0_9
; %bb.8:
	s_add_u32 s8, s12, 0x3400
	s_addc_u32 s9, s13, 0
	global_load_dwordx2 v[75:76], v79, s[8:9]
	ds_read_b64 v[73:74], v81
	s_waitcnt vmcnt(0) lgkmcnt(0)
	v_mul_f32_e32 v77, v74, v76
	v_mul_f32_e32 v78, v73, v76
	v_fma_f32 v77, v73, v75, -v77
	v_fmac_f32_e32 v78, v74, v75
	ds_write_b64 v81, v[77:78]
	global_load_dwordx2 v[77:78], v79, s[8:9] offset:1024
	ds_read2st64_b64 v[73:76], v79 offset0:2 offset1:4
	s_waitcnt vmcnt(0) lgkmcnt(0)
	v_mul_f32_e32 v95, v74, v78
	v_mul_f32_e32 v96, v73, v78
	v_fma_f32 v95, v73, v77, -v95
	v_fmac_f32_e32 v96, v74, v77
	global_load_dwordx2 v[73:74], v79, s[8:9] offset:2048
	s_waitcnt vmcnt(0)
	v_mul_f32_e32 v77, v76, v74
	v_mul_f32_e32 v78, v75, v74
	v_fma_f32 v77, v75, v73, -v77
	v_fmac_f32_e32 v78, v76, v73
	ds_write2st64_b64 v79, v[95:96], v[77:78] offset0:2 offset1:4
	global_load_dwordx2 v[77:78], v79, s[8:9] offset:3072
	ds_read2st64_b64 v[73:76], v79 offset0:6 offset1:8
	s_waitcnt vmcnt(0) lgkmcnt(0)
	v_mul_f32_e32 v95, v74, v78
	v_fma_f32 v95, v73, v77, -v95
	v_mul_f32_e32 v96, v73, v78
	v_or_b32_e32 v73, 0x1000, v79
	v_fmac_f32_e32 v96, v74, v77
	global_load_dwordx2 v[73:74], v73, s[8:9]
	s_waitcnt vmcnt(0)
	v_mul_f32_e32 v77, v76, v74
	v_mul_f32_e32 v78, v75, v74
	v_fma_f32 v77, v75, v73, -v77
	v_fmac_f32_e32 v78, v76, v73
	ds_write2st64_b64 v79, v[95:96], v[77:78] offset0:6 offset1:8
	v_or_b32_e32 v77, 0x1400, v79
	global_load_dwordx2 v[77:78], v77, s[8:9]
	ds_read2st64_b64 v[73:76], v79 offset0:10 offset1:12
	s_waitcnt vmcnt(0) lgkmcnt(0)
	v_mul_f32_e32 v95, v74, v78
	v_fma_f32 v95, v73, v77, -v95
	v_mul_f32_e32 v96, v73, v78
	v_or_b32_e32 v73, 0x1800, v79
	v_fmac_f32_e32 v96, v74, v77
	global_load_dwordx2 v[73:74], v73, s[8:9]
	s_waitcnt vmcnt(0)
	v_mul_f32_e32 v77, v76, v74
	v_mul_f32_e32 v78, v75, v74
	v_fma_f32 v77, v75, v73, -v77
	v_fmac_f32_e32 v78, v76, v73
	ds_write2st64_b64 v79, v[95:96], v[77:78] offset0:10 offset1:12
	v_or_b32_e32 v77, 0x1c00, v79
	global_load_dwordx2 v[77:78], v77, s[8:9]
	;; [unrolled: 16-line block ×4, first 2 shown]
	ds_read2st64_b64 v[73:76], v79 offset0:22 offset1:24
	s_waitcnt vmcnt(0) lgkmcnt(0)
	v_mul_f32_e32 v95, v74, v78
	v_fma_f32 v95, v73, v77, -v95
	v_mul_f32_e32 v96, v73, v78
	v_or_b32_e32 v73, 0x3000, v79
	v_fmac_f32_e32 v96, v74, v77
	global_load_dwordx2 v[73:74], v73, s[8:9]
	s_waitcnt vmcnt(0)
	v_mul_f32_e32 v77, v76, v74
	v_mul_f32_e32 v78, v75, v74
	v_fma_f32 v77, v75, v73, -v77
	v_fmac_f32_e32 v78, v76, v73
	ds_write2st64_b64 v79, v[95:96], v[77:78] offset0:22 offset1:24
.LBB0_9:
	s_or_b64 exec, exec, s[2:3]
	s_waitcnt lgkmcnt(0)
	s_barrier
	s_and_saveexec_b64 s[2:3], s[0:1]
	s_cbranch_execz .LBB0_11
; %bb.10:
	ds_read2st64_b64 v[16:19], v81 offset1:2
	ds_read2st64_b64 v[28:31], v81 offset0:4 offset1:6
	ds_read2st64_b64 v[24:27], v81 offset0:8 offset1:10
	;; [unrolled: 1-line block ×5, first 2 shown]
	ds_read_b64 v[33:34], v81 offset:12288
.LBB0_11:
	s_or_b64 exec, exec, s[2:3]
	s_waitcnt lgkmcnt(0)
	s_barrier
	s_and_saveexec_b64 s[2:3], s[0:1]
	s_cbranch_execz .LBB0_13
; %bb.12:
	v_add_f32_e32 v109, v34, v19
	v_mul_f32_e32 v110, 0xbf788fa5, v109
	v_add_f32_e32 v111, v3, v29
	v_sub_f32_e32 v95, v18, v33
	v_mov_b32_e32 v73, v110
	v_mul_f32_e32 v112, 0x3f62ad3f, v111
	v_fmac_f32_e32 v73, 0x3e750f2a, v95
	v_sub_f32_e32 v96, v28, v2
	v_mov_b32_e32 v74, v112
	v_add_f32_e32 v113, v1, v31
	v_add_f32_e32 v73, v17, v73
	v_fmac_f32_e32 v74, 0xbeedf032, v96
	v_mul_f32_e32 v114, 0xbf3f9e67, v113
	v_add_f32_e32 v73, v74, v73
	v_sub_f32_e32 v97, v30, v0
	v_mov_b32_e32 v74, v114
	v_add_f32_e32 v115, v7, v25
	v_fmac_f32_e32 v74, 0x3f29c268, v97
	v_mul_f32_e32 v116, 0x3f116cb1, v115
	v_add_f32_e32 v73, v74, v73
	v_sub_f32_e32 v98, v24, v6
	v_mov_b32_e32 v74, v116
	;; [unrolled: 6-line block ×4, first 2 shown]
	v_sub_f32_e32 v121, v19, v34
	v_fmac_f32_e32 v74, 0xbf7e222b, v100
	v_mul_f32_e32 v122, 0xbe750f2a, v121
	v_sub_f32_e32 v123, v29, v3
	v_add_f32_e32 v74, v74, v73
	v_add_f32_e32 v101, v33, v18
	v_mov_b32_e32 v73, v122
	v_mul_f32_e32 v124, 0x3eedf032, v123
	v_fmac_f32_e32 v73, 0xbf788fa5, v101
	v_add_f32_e32 v102, v2, v28
	v_mov_b32_e32 v75, v124
	v_sub_f32_e32 v125, v31, v1
	v_add_f32_e32 v73, v16, v73
	v_fmac_f32_e32 v75, 0x3f62ad3f, v102
	v_mul_f32_e32 v126, 0xbf29c268, v125
	v_add_f32_e32 v73, v75, v73
	v_add_f32_e32 v103, v0, v30
	v_mov_b32_e32 v75, v126
	v_sub_f32_e32 v127, v25, v7
	v_fmac_f32_e32 v75, 0xbf3f9e67, v103
	v_mul_f32_e32 v128, 0x3f52af12, v127
	v_add_f32_e32 v73, v75, v73
	v_add_f32_e32 v104, v6, v24
	v_mov_b32_e32 v75, v128
	v_sub_f32_e32 v129, v27, v5
	;; [unrolled: 6-line block ×3, first 2 shown]
	v_fmac_f32_e32 v75, 0xbeb58ec6, v105
	v_mul_f32_e32 v132, 0x3f7e222b, v131
	v_add_f32_e32 v73, v75, v73
	v_add_f32_e32 v106, v22, v20
	v_mov_b32_e32 v75, v132
	v_fmac_f32_e32 v75, 0x3df6dbef, v106
	v_mul_f32_e32 v133, 0xbf3f9e67, v109
	v_add_f32_e32 v73, v75, v73
	v_mov_b32_e32 v75, v133
	v_mul_f32_e32 v134, 0x3df6dbef, v111
	v_fmac_f32_e32 v75, 0x3f29c268, v95
	v_mov_b32_e32 v76, v134
	v_add_f32_e32 v75, v17, v75
	v_fmac_f32_e32 v76, 0xbf7e222b, v96
	v_mul_f32_e32 v135, 0x3f116cb1, v113
	v_add_f32_e32 v75, v76, v75
	v_mov_b32_e32 v76, v135
	v_fmac_f32_e32 v76, 0x3f52af12, v97
	v_mul_f32_e32 v136, 0xbf788fa5, v115
	v_add_f32_e32 v75, v76, v75
	v_mov_b32_e32 v76, v136
	v_fmac_f32_e32 v76, 0xbe750f2a, v98
	v_mul_f32_e32 v137, 0x3f62ad3f, v117
	v_add_f32_e32 v75, v76, v75
	v_mov_b32_e32 v76, v137
	v_fmac_f32_e32 v76, 0xbeedf032, v99
	v_mul_f32_e32 v138, 0xbeb58ec6, v119
	v_add_f32_e32 v75, v76, v75
	v_mov_b32_e32 v76, v138
	v_fmac_f32_e32 v76, 0x3f6f5d39, v100
	v_mul_f32_e32 v139, 0xbf29c268, v121
	v_add_f32_e32 v76, v76, v75
	v_mov_b32_e32 v75, v139
	v_mul_f32_e32 v140, 0x3f7e222b, v123
	v_fmac_f32_e32 v75, 0xbf3f9e67, v101
	v_mov_b32_e32 v77, v140
	v_add_f32_e32 v75, v16, v75
	v_fmac_f32_e32 v77, 0x3df6dbef, v102
	v_mul_f32_e32 v141, 0xbf52af12, v125
	v_add_f32_e32 v75, v77, v75
	v_mov_b32_e32 v77, v141
	v_fmac_f32_e32 v77, 0x3f116cb1, v103
	v_mul_f32_e32 v142, 0x3e750f2a, v127
	v_add_f32_e32 v75, v77, v75
	v_mov_b32_e32 v77, v142
	v_fmac_f32_e32 v77, 0xbf788fa5, v104
	v_mul_f32_e32 v143, 0x3eedf032, v129
	v_add_f32_e32 v75, v77, v75
	v_mov_b32_e32 v77, v143
	v_fmac_f32_e32 v77, 0x3f62ad3f, v105
	v_mul_f32_e32 v144, 0xbf6f5d39, v131
	;; [unrolled: 24-line block ×3, first 2 shown]
	v_add_f32_e32 v77, v78, v77
	v_mov_b32_e32 v78, v150
	v_fmac_f32_e32 v78, 0xbf52af12, v100
	v_mul_f32_e32 v151, 0xbf6f5d39, v121
	v_add_f32_e32 v78, v78, v77
	v_mov_b32_e32 v77, v151
	v_mul_f32_e32 v152, 0x3f29c268, v123
	v_fmac_f32_e32 v77, 0xbeb58ec6, v101
	v_mov_b32_e32 v107, v152
	v_add_f32_e32 v77, v16, v77
	v_fmac_f32_e32 v107, 0xbf3f9e67, v102
	v_mul_f32_e32 v153, 0x3eedf032, v125
	v_add_f32_e32 v19, v19, v17
	v_add_f32_e32 v77, v107, v77
	v_mov_b32_e32 v107, v153
	v_add_f32_e32 v19, v29, v19
	v_fmac_f32_e32 v107, 0x3f62ad3f, v103
	v_mul_f32_e32 v154, 0xbf7e222b, v127
	v_add_f32_e32 v29, v31, v19
	v_add_f32_e32 v77, v107, v77
	;; [unrolled: 6-line block ×3, first 2 shown]
	v_mov_b32_e32 v107, v155
	v_add_f32_e32 v18, v18, v16
	v_add_f32_e32 v21, v21, v27
	v_fmac_f32_e32 v107, 0xbf788fa5, v105
	v_mul_f32_e32 v156, 0x3f52af12, v131
	v_add_f32_e32 v18, v28, v18
	v_add_f32_e32 v21, v23, v21
	;; [unrolled: 1-line block ×3, first 2 shown]
	v_mov_b32_e32 v107, v156
	v_add_f32_e32 v18, v30, v18
	v_add_f32_e32 v5, v5, v21
	v_fmac_f32_e32 v107, 0x3f116cb1, v106
	v_mul_f32_e32 v157, 0x3df6dbef, v109
	v_add_f32_e32 v18, v24, v18
	v_add_f32_e32 v5, v7, v5
	;; [unrolled: 1-line block ×3, first 2 shown]
	v_mov_b32_e32 v107, v157
	v_mul_f32_e32 v158, 0xbf788fa5, v111
	v_add_f32_e32 v26, v26, v18
	v_add_f32_e32 v1, v1, v5
	v_fmac_f32_e32 v107, 0x3f7e222b, v95
	v_mov_b32_e32 v108, v158
	v_add_f32_e32 v1, v3, v1
	v_add_f32_e32 v3, v20, v26
	;; [unrolled: 1-line block ×3, first 2 shown]
	v_fmac_f32_e32 v108, 0x3e750f2a, v96
	v_mul_f32_e32 v159, 0xbeb58ec6, v113
	v_add_f32_e32 v3, v22, v3
	v_add_f32_e32 v107, v108, v107
	v_mov_b32_e32 v108, v159
	v_add_f32_e32 v3, v4, v3
	v_fmac_f32_e32 v108, 0xbf6f5d39, v97
	v_mul_f32_e32 v160, 0x3f62ad3f, v115
	v_add_f32_e32 v3, v6, v3
	v_add_f32_e32 v107, v108, v107
	v_mov_b32_e32 v108, v160
	v_add_f32_e32 v0, v0, v3
	v_fmac_f32_e32 v110, 0xbe750f2a, v95
	v_fmac_f32_e32 v108, 0xbeedf032, v98
	v_mul_f32_e32 v161, 0x3f116cb1, v117
	v_add_f32_e32 v0, v2, v0
	v_add_f32_e32 v2, v17, v110
	v_fmac_f32_e32 v112, 0x3eedf032, v96
	v_add_f32_e32 v107, v108, v107
	v_mov_b32_e32 v108, v161
	v_add_f32_e32 v2, v112, v2
	v_fmac_f32_e32 v114, 0xbf29c268, v97
	v_fmac_f32_e32 v108, 0x3f52af12, v99
	v_mul_f32_e32 v162, 0xbf3f9e67, v119
	v_add_f32_e32 v2, v114, v2
	v_fmac_f32_e32 v116, 0x3f52af12, v98
	v_add_f32_e32 v107, v108, v107
	v_mov_b32_e32 v108, v162
	v_add_f32_e32 v2, v116, v2
	v_fmac_f32_e32 v118, 0xbf6f5d39, v99
	v_fmac_f32_e32 v108, 0x3f29c268, v100
	v_mul_f32_e32 v163, 0xbf7e222b, v121
	s_mov_b32 s8, 0xbf788fa5
	v_add_f32_e32 v2, v118, v2
	v_fmac_f32_e32 v120, 0x3f7e222b, v100
	v_add_f32_e32 v108, v108, v107
	v_mov_b32_e32 v107, v163
	v_mul_f32_e32 v164, 0xbe750f2a, v123
	s_mov_b32 s10, 0x3f62ad3f
	v_add_f32_e32 v3, v120, v2
	v_fma_f32 v2, v101, s8, -v122
	v_fmac_f32_e32 v107, 0x3df6dbef, v101
	v_mov_b32_e32 v165, v164
	s_mov_b32 s9, 0xbf3f9e67
	v_add_f32_e32 v2, v16, v2
	v_fma_f32 v4, v102, s10, -v124
	v_add_f32_e32 v107, v16, v107
	v_fmac_f32_e32 v165, 0xbf788fa5, v102
	s_mov_b32 s11, 0x3f116cb1
	v_add_f32_e32 v2, v4, v2
	v_fma_f32 v4, v103, s9, -v126
	v_add_f32_e32 v107, v165, v107
	v_mul_f32_e32 v165, 0x3f6f5d39, v125
	s_mov_b32 s16, 0xbeb58ec6
	v_add_f32_e32 v2, v4, v2
	v_fma_f32 v4, v104, s11, -v128
	v_mov_b32_e32 v166, v165
	s_mov_b32 s17, 0x3df6dbef
	v_add_f32_e32 v2, v4, v2
	v_fma_f32 v4, v105, s16, -v130
	v_fmac_f32_e32 v166, 0xbeb58ec6, v103
	v_add_f32_e32 v2, v4, v2
	v_fma_f32 v4, v106, s17, -v132
	v_fmac_f32_e32 v133, 0xbf29c268, v95
	v_add_f32_e32 v107, v166, v107
	v_mul_f32_e32 v166, 0x3eedf032, v127
	v_add_f32_e32 v2, v4, v2
	v_add_f32_e32 v4, v17, v133
	v_fmac_f32_e32 v134, 0x3f7e222b, v96
	v_mov_b32_e32 v167, v166
	v_add_f32_e32 v4, v134, v4
	v_fmac_f32_e32 v135, 0xbf52af12, v97
	v_fmac_f32_e32 v167, 0x3f62ad3f, v104
	v_add_f32_e32 v4, v135, v4
	v_fmac_f32_e32 v136, 0x3e750f2a, v98
	v_add_f32_e32 v107, v167, v107
	v_mul_f32_e32 v167, 0xbf52af12, v129
	v_add_f32_e32 v4, v136, v4
	v_fmac_f32_e32 v137, 0x3eedf032, v99
	v_mov_b32_e32 v168, v167
	v_add_f32_e32 v4, v137, v4
	v_fmac_f32_e32 v138, 0xbf6f5d39, v100
	v_fmac_f32_e32 v168, 0x3f116cb1, v105
	v_add_f32_e32 v5, v138, v4
	v_fma_f32 v4, v101, s9, -v139
	v_add_f32_e32 v107, v168, v107
	v_mul_f32_e32 v168, 0xbf29c268, v131
	v_add_f32_e32 v4, v16, v4
	v_fma_f32 v6, v102, s17, -v140
	v_mov_b32_e32 v169, v168
	v_add_f32_e32 v4, v6, v4
	v_fma_f32 v6, v103, s11, -v141
	v_fmac_f32_e32 v169, 0xbf3f9e67, v106
	v_add_f32_e32 v4, v6, v4
	v_fma_f32 v6, v104, s8, -v142
	v_add_f32_e32 v107, v169, v107
	v_mul_f32_e32 v169, 0x3f116cb1, v109
	v_add_f32_e32 v4, v6, v4
	v_fma_f32 v6, v105, s10, -v143
	v_mov_b32_e32 v170, v169
	v_mul_f32_e32 v171, 0xbeb58ec6, v111
	v_add_f32_e32 v4, v6, v4
	v_fma_f32 v6, v106, s16, -v144
	v_fmac_f32_e32 v145, 0xbf6f5d39, v95
	v_fmac_f32_e32 v170, 0x3f52af12, v95
	v_mov_b32_e32 v172, v171
	v_add_f32_e32 v4, v6, v4
	v_add_f32_e32 v6, v17, v145
	v_fmac_f32_e32 v146, 0x3f29c268, v96
	v_add_f32_e32 v170, v17, v170
	v_fmac_f32_e32 v172, 0x3f6f5d39, v96
	;; [unrolled: 2-line block ×3, first 2 shown]
	v_add_f32_e32 v170, v172, v170
	v_mul_f32_e32 v172, 0xbf788fa5, v113
	v_add_f32_e32 v6, v147, v6
	v_fmac_f32_e32 v148, 0xbf7e222b, v98
	v_mov_b32_e32 v173, v172
	v_add_f32_e32 v6, v148, v6
	v_fmac_f32_e32 v149, 0x3e750f2a, v99
	v_fmac_f32_e32 v173, 0x3e750f2a, v97
	v_mul_f32_e32 v176, 0xbf52af12, v121
	v_add_f32_e32 v6, v149, v6
	v_fmac_f32_e32 v150, 0x3f52af12, v100
	v_add_f32_e32 v170, v173, v170
	v_mul_f32_e32 v173, 0xbf3f9e67, v115
	v_mov_b32_e32 v19, v176
	v_mul_f32_e32 v28, 0xbf6f5d39, v123
	v_add_f32_e32 v7, v150, v6
	v_fma_f32 v6, v101, s16, -v151
	v_mov_b32_e32 v174, v173
	v_fmac_f32_e32 v19, 0x3f116cb1, v101
	v_mov_b32_e32 v30, v28
	v_add_f32_e32 v6, v16, v6
	v_fma_f32 v20, v102, s9, -v152
	v_fmac_f32_e32 v174, 0xbf29c268, v98
	v_add_f32_e32 v19, v16, v19
	v_fmac_f32_e32 v30, 0xbeb58ec6, v102
	v_add_f32_e32 v6, v20, v6
	v_fma_f32 v20, v103, s10, -v153
	v_add_f32_e32 v170, v174, v170
	v_mul_f32_e32 v174, 0x3df6dbef, v117
	v_add_f32_e32 v19, v30, v19
	v_mul_f32_e32 v30, 0xbe750f2a, v125
	v_add_f32_e32 v6, v20, v6
	v_fma_f32 v20, v104, s17, -v154
	v_mov_b32_e32 v175, v174
	v_mov_b32_e32 v31, v30
	v_mul_f32_e32 v29, 0x3f29c268, v127
	v_add_f32_e32 v6, v20, v6
	v_fma_f32 v20, v105, s8, -v155
	v_fmac_f32_e32 v175, 0xbf7e222b, v99
	v_fmac_f32_e32 v31, 0xbf788fa5, v103
	v_mov_b32_e32 v18, v29
	v_add_f32_e32 v6, v20, v6
	v_fma_f32 v20, v106, s11, -v156
	v_fmac_f32_e32 v157, 0xbf7e222b, v95
	v_add_f32_e32 v170, v175, v170
	v_mul_f32_e32 v175, 0x3f62ad3f, v119
	v_add_f32_e32 v31, v31, v19
	v_fmac_f32_e32 v18, 0xbf3f9e67, v104
	v_add_f32_e32 v6, v20, v6
	v_add_f32_e32 v20, v17, v157
	v_fmac_f32_e32 v158, 0xbe750f2a, v96
	v_mov_b32_e32 v19, v175
	v_add_f32_e32 v18, v18, v31
	v_mul_f32_e32 v31, 0x3f7e222b, v129
	v_add_f32_e32 v20, v158, v20
	v_fmac_f32_e32 v159, 0x3f6f5d39, v97
	v_fmac_f32_e32 v19, 0xbeedf032, v100
	v_mov_b32_e32 v24, v31
	v_add_f32_e32 v20, v159, v20
	v_fmac_f32_e32 v160, 0x3eedf032, v98
	v_add_f32_e32 v19, v19, v170
	v_fmac_f32_e32 v24, 0x3df6dbef, v105
	v_mul_f32_e32 v170, 0x3eedf032, v131
	v_add_f32_e32 v20, v160, v20
	v_fmac_f32_e32 v161, 0xbf52af12, v99
	v_add_f32_e32 v18, v24, v18
	v_mov_b32_e32 v24, v170
	v_add_f32_e32 v20, v161, v20
	v_fmac_f32_e32 v162, 0xbf29c268, v100
	v_fmac_f32_e32 v24, 0x3f62ad3f, v106
	v_mul_f32_e32 v109, 0x3f62ad3f, v109
	v_add_f32_e32 v21, v162, v20
	v_fma_f32 v20, v101, s17, -v163
	v_add_f32_e32 v18, v24, v18
	v_mov_b32_e32 v24, v109
	v_mul_f32_e32 v111, 0x3f116cb1, v111
	v_add_f32_e32 v20, v16, v20
	v_fma_f32 v22, v102, s8, -v164
	v_fmac_f32_e32 v24, 0x3eedf032, v95
	v_mov_b32_e32 v25, v111
	v_add_f32_e32 v20, v22, v20
	v_fma_f32 v22, v103, s16, -v165
	v_add_f32_e32 v24, v17, v24
	v_fmac_f32_e32 v25, 0x3f52af12, v96
	v_mul_f32_e32 v113, 0x3df6dbef, v113
	v_add_f32_e32 v20, v22, v20
	v_fma_f32 v22, v104, s10, -v166
	v_add_f32_e32 v24, v25, v24
	v_mov_b32_e32 v25, v113
	v_add_f32_e32 v20, v22, v20
	v_fma_f32 v22, v105, s11, -v167
	v_fmac_f32_e32 v25, 0x3f7e222b, v97
	v_mul_f32_e32 v115, 0xbeb58ec6, v115
	v_add_f32_e32 v20, v22, v20
	v_fma_f32 v22, v106, s9, -v168
	v_fmac_f32_e32 v169, 0xbf52af12, v95
	v_add_f32_e32 v24, v25, v24
	v_mov_b32_e32 v25, v115
	v_add_f32_e32 v20, v22, v20
	v_add_f32_e32 v22, v17, v169
	v_fmac_f32_e32 v171, 0xbf6f5d39, v96
	v_fmac_f32_e32 v25, 0x3f6f5d39, v98
	v_mul_f32_e32 v117, 0xbf3f9e67, v117
	v_add_f32_e32 v22, v171, v22
	v_fmac_f32_e32 v172, 0xbe750f2a, v97
	v_add_f32_e32 v24, v25, v24
	v_mov_b32_e32 v25, v117
	v_add_f32_e32 v22, v172, v22
	v_fmac_f32_e32 v173, 0x3f29c268, v98
	v_fmac_f32_e32 v25, 0x3f29c268, v99
	v_mul_f32_e32 v121, 0xbeedf032, v121
	v_add_f32_e32 v22, v173, v22
	v_fmac_f32_e32 v174, 0x3f7e222b, v99
	v_add_f32_e32 v24, v25, v24
	v_mov_b32_e32 v25, v121
	v_mul_f32_e32 v123, 0xbf52af12, v123
	v_add_f32_e32 v22, v174, v22
	v_fmac_f32_e32 v175, 0x3eedf032, v100
	v_fmac_f32_e32 v25, 0x3f62ad3f, v101
	v_mov_b32_e32 v177, v123
	v_add_f32_e32 v23, v175, v22
	v_fma_f32 v22, v101, s11, -v176
	v_add_f32_e32 v25, v16, v25
	v_fmac_f32_e32 v177, 0x3f116cb1, v102
	v_mul_f32_e32 v125, 0xbf7e222b, v125
	v_add_f32_e32 v22, v16, v22
	v_fma_f32 v26, v102, s16, -v28
	v_add_f32_e32 v25, v177, v25
	v_mov_b32_e32 v177, v125
	v_add_f32_e32 v22, v26, v22
	v_fma_f32 v26, v103, s8, -v30
	v_fmac_f32_e32 v177, 0x3df6dbef, v103
	v_mul_f32_e32 v127, 0xbf6f5d39, v127
	v_add_f32_e32 v22, v26, v22
	v_fma_f32 v26, v104, s9, -v29
	v_add_f32_e32 v25, v177, v25
	v_mov_b32_e32 v177, v127
	v_add_f32_e32 v22, v26, v22
	v_fma_f32 v26, v105, s17, -v31
	v_fmac_f32_e32 v177, 0xbeb58ec6, v104
	v_mul_f32_e32 v129, 0xbf29c268, v129
	v_add_f32_e32 v22, v26, v22
	v_fma_f32 v26, v106, s10, -v170
	v_add_f32_e32 v25, v177, v25
	v_mov_b32_e32 v177, v129
	v_add_f32_e32 v22, v26, v22
	v_fma_f32 v26, v101, s10, -v121
	v_fmac_f32_e32 v177, 0xbf3f9e67, v105
	v_mul_f32_e32 v119, 0xbf788fa5, v119
	v_fmac_f32_e32 v109, 0xbeedf032, v95
	v_add_f32_e32 v16, v16, v26
	v_fma_f32 v26, v102, s11, -v123
	v_add_f32_e32 v177, v177, v25
	v_mov_b32_e32 v25, v119
	v_add_f32_e32 v17, v17, v109
	v_fmac_f32_e32 v111, 0xbf52af12, v96
	v_add_f32_e32 v16, v26, v16
	v_fma_f32 v26, v103, s17, -v125
	v_fmac_f32_e32 v25, 0x3e750f2a, v100
	v_mul_f32_e32 v131, 0xbe750f2a, v131
	v_add_f32_e32 v17, v111, v17
	v_fmac_f32_e32 v113, 0xbf7e222b, v97
	v_add_f32_e32 v16, v26, v16
	v_fma_f32 v26, v104, s16, -v127
	v_add_f32_e32 v25, v25, v24
	v_mov_b32_e32 v24, v131
	v_add_f32_e32 v17, v113, v17
	v_fmac_f32_e32 v115, 0xbf6f5d39, v98
	v_add_f32_e32 v16, v26, v16
	v_fma_f32 v26, v105, s9, -v129
	v_fmac_f32_e32 v24, 0xbf788fa5, v106
	v_add_f32_e32 v17, v115, v17
	v_fmac_f32_e32 v117, 0xbf29c268, v99
	v_add_f32_e32 v16, v26, v16
	v_fma_f32 v26, v106, s8, -v131
	v_add_f32_e32 v24, v24, v177
	v_add_f32_e32 v1, v34, v1
	;; [unrolled: 1-line block ×4, first 2 shown]
	v_fmac_f32_e32 v119, 0xbe750f2a, v100
	v_add_f32_e32 v16, v26, v16
	v_lshlrev_b32_e32 v26, 3, v82
	v_add_f32_e32 v17, v119, v17
	ds_write2_b64 v26, v[0:1], v[24:25] offset1:1
	ds_write2_b64 v26, v[18:19], v[107:108] offset0:2 offset1:3
	ds_write2_b64 v26, v[77:78], v[75:76] offset0:4 offset1:5
	;; [unrolled: 1-line block ×5, first 2 shown]
	ds_write_b64 v26, v[16:17] offset:96
.LBB0_13:
	s_or_b64 exec, exec, s[2:3]
	v_add_u32_e32 v24, 0x1a00, v81
	s_waitcnt lgkmcnt(0)
	s_barrier
	ds_read2_b64 v[4:7], v24 offset1:208
	v_add_u32_e32 v26, 0x2600, v81
	ds_read2_b64 v[20:23], v26 offset0:32 offset1:240
	v_add_u32_e32 v25, 0xc00, v81
	ds_read2_b64 v[0:3], v81 offset1:208
	s_waitcnt lgkmcnt(2)
	v_mul_f32_e32 v27, v42, v5
	ds_read2_b64 v[16:19], v25 offset0:32 offset1:240
	v_fmac_f32_e32 v27, v41, v4
	v_mul_f32_e32 v4, v42, v4
	v_fma_f32 v5, v41, v5, -v4
	v_mul_f32_e32 v4, v40, v6
	v_mul_f32_e32 v28, v40, v7
	v_fma_f32 v7, v39, v7, -v4
	s_waitcnt lgkmcnt(2)
	v_mul_f32_e32 v4, v38, v20
	v_mul_f32_e32 v29, v38, v21
	v_fma_f32 v21, v37, v21, -v4
	v_mul_f32_e32 v30, v36, v23
	v_mul_f32_e32 v4, v36, v22
	v_fmac_f32_e32 v28, v39, v6
	v_fmac_f32_e32 v29, v37, v20
	;; [unrolled: 1-line block ×3, first 2 shown]
	v_fma_f32 v23, v35, v23, -v4
	s_waitcnt lgkmcnt(1)
	v_sub_f32_e32 v4, v0, v27
	v_sub_f32_e32 v5, v1, v5
	;; [unrolled: 1-line block ×4, first 2 shown]
	s_waitcnt lgkmcnt(0)
	v_sub_f32_e32 v20, v16, v29
	v_sub_f32_e32 v21, v17, v21
	;; [unrolled: 1-line block ×4, first 2 shown]
	v_fma_f32 v0, v0, 2.0, -v4
	v_fma_f32 v1, v1, 2.0, -v5
	;; [unrolled: 1-line block ×8, first 2 shown]
	s_barrier
	ds_write2_b64 v86, v[0:1], v[4:5] offset1:13
	ds_write2_b64 v85, v[2:3], v[6:7] offset1:13
	;; [unrolled: 1-line block ×4, first 2 shown]
	s_waitcnt lgkmcnt(0)
	s_barrier
	ds_read2_b64 v[0:3], v24 offset1:208
	ds_read2_b64 v[4:7], v81 offset1:208
	ds_read2_b64 v[16:19], v25 offset0:32 offset1:240
	ds_read2_b64 v[20:23], v26 offset0:32 offset1:240
	s_waitcnt lgkmcnt(0)
	v_mul_f32_e32 v27, v50, v1
	v_fmac_f32_e32 v27, v49, v0
	v_mul_f32_e32 v0, v50, v0
	v_fma_f32 v1, v49, v1, -v0
	v_mul_f32_e32 v0, v48, v2
	v_fma_f32 v29, v47, v3, -v0
	v_mul_f32_e32 v0, v46, v20
	v_mul_f32_e32 v28, v48, v3
	v_mul_f32_e32 v30, v46, v21
	v_fma_f32 v21, v45, v21, -v0
	v_mul_f32_e32 v31, v44, v23
	v_mul_f32_e32 v0, v44, v22
	v_fmac_f32_e32 v28, v47, v2
	v_fmac_f32_e32 v30, v45, v20
	;; [unrolled: 1-line block ×3, first 2 shown]
	v_fma_f32 v23, v43, v23, -v0
	v_sub_f32_e32 v0, v4, v27
	v_sub_f32_e32 v1, v5, v1
	v_fma_f32 v2, v4, 2.0, -v0
	v_fma_f32 v3, v5, 2.0, -v1
	v_sub_f32_e32 v4, v6, v28
	v_sub_f32_e32 v5, v7, v29
	;; [unrolled: 1-line block ×6, first 2 shown]
	v_fma_f32 v6, v6, 2.0, -v4
	v_fma_f32 v7, v7, 2.0, -v5
	;; [unrolled: 1-line block ×6, first 2 shown]
	s_barrier
	ds_write2_b64 v90, v[2:3], v[0:1] offset1:26
	ds_write2_b64 v89, v[6:7], v[4:5] offset1:26
	;; [unrolled: 1-line block ×4, first 2 shown]
	s_waitcnt lgkmcnt(0)
	s_barrier
	ds_read2_b64 v[0:3], v25 offset0:32 offset1:240
	ds_read2_b64 v[4:7], v81 offset1:208
	ds_read2_b64 v[16:19], v24 offset1:208
	ds_read2_b64 v[20:23], v26 offset0:32 offset1:240
	s_waitcnt lgkmcnt(0)
	v_mul_f32_e32 v27, v9, v1
	v_fmac_f32_e32 v27, v8, v0
	v_mul_f32_e32 v0, v9, v0
	v_fma_f32 v0, v8, v1, -v0
	v_mul_f32_e32 v1, v11, v17
	v_mul_f32_e32 v8, v11, v16
	;; [unrolled: 1-line block ×3, first 2 shown]
	v_fma_f32 v8, v10, v17, -v8
	v_mul_f32_e32 v9, v52, v21
	v_fmac_f32_e32 v11, v12, v2
	v_mul_f32_e32 v2, v13, v2
	v_mul_f32_e32 v13, v15, v19
	v_fmac_f32_e32 v1, v10, v16
	v_fmac_f32_e32 v9, v51, v20
	v_mul_f32_e32 v10, v52, v20
	v_fma_f32 v12, v12, v3, -v2
	v_fmac_f32_e32 v13, v14, v18
	v_mul_f32_e32 v2, v15, v18
	v_sub_f32_e32 v18, v5, v8
	v_fma_f32 v10, v51, v21, -v10
	v_fma_f32 v14, v14, v19, -v2
	v_mul_f32_e32 v15, v54, v23
	v_mul_f32_e32 v2, v54, v22
	v_sub_f32_e32 v17, v4, v1
	v_fma_f32 v3, v5, 2.0, -v18
	v_sub_f32_e32 v5, v27, v9
	v_fmac_f32_e32 v15, v53, v22
	v_fma_f32 v16, v53, v23, -v2
	v_fma_f32 v2, v4, 2.0, -v17
	v_sub_f32_e32 v4, v0, v10
	v_fma_f32 v1, v27, 2.0, -v5
	v_sub_f32_e32 v5, v18, v5
	v_fma_f32 v8, v0, 2.0, -v4
	v_add_f32_e32 v4, v17, v4
	v_fma_f32 v9, v18, 2.0, -v5
	v_sub_f32_e32 v18, v7, v14
	v_sub_f32_e32 v14, v11, v15
	;; [unrolled: 1-line block ×5, first 2 shown]
	v_fma_f32 v8, v17, 2.0, -v4
	v_sub_f32_e32 v17, v6, v13
	v_fma_f32 v13, v7, 2.0, -v18
	v_fma_f32 v7, v12, 2.0, -v15
	;; [unrolled: 1-line block ×4, first 2 shown]
	v_sub_f32_e32 v7, v13, v7
	v_sub_f32_e32 v6, v10, v6
	v_fma_f32 v11, v13, 2.0, -v7
	v_add_f32_e32 v12, v17, v15
	v_sub_f32_e32 v13, v18, v14
	v_fma_f32 v2, v2, 2.0, -v0
	v_fma_f32 v3, v3, 2.0, -v1
	;; [unrolled: 1-line block ×5, first 2 shown]
	s_barrier
	ds_write2_b64 v92, v[2:3], v[8:9] offset1:52
	ds_write2_b64 v92, v[0:1], v[4:5] offset0:104 offset1:156
	ds_write2_b64 v91, v[10:11], v[14:15] offset1:52
	ds_write2_b64 v91, v[6:7], v[12:13] offset0:104 offset1:156
	s_waitcnt lgkmcnt(0)
	s_barrier
	ds_read2_b64 v[0:3], v24 offset1:208
	ds_read2_b64 v[4:7], v81 offset1:208
	ds_read2_b64 v[8:11], v25 offset0:32 offset1:240
	ds_read2_b64 v[12:15], v26 offset0:32 offset1:240
	s_waitcnt lgkmcnt(0)
	v_mul_f32_e32 v16, v58, v1
	v_fmac_f32_e32 v16, v57, v0
	v_mul_f32_e32 v0, v58, v0
	v_fma_f32 v1, v57, v1, -v0
	v_mul_f32_e32 v0, v58, v2
	v_fma_f32 v18, v57, v3, -v0
	v_mul_f32_e32 v0, v56, v12
	v_mul_f32_e32 v17, v58, v3
	;; [unrolled: 1-line block ×3, first 2 shown]
	v_fma_f32 v13, v55, v13, -v0
	v_mul_f32_e32 v0, v60, v14
	v_fmac_f32_e32 v17, v57, v2
	v_fmac_f32_e32 v19, v55, v12
	v_mul_f32_e32 v20, v60, v15
	v_fma_f32 v15, v59, v15, -v0
	v_sub_f32_e32 v0, v4, v16
	v_sub_f32_e32 v1, v5, v1
	v_fmac_f32_e32 v20, v59, v14
	v_fma_f32 v2, v4, 2.0, -v0
	v_fma_f32 v3, v5, 2.0, -v1
	v_sub_f32_e32 v4, v6, v17
	v_sub_f32_e32 v5, v7, v18
	;; [unrolled: 1-line block ×4, first 2 shown]
	v_fma_f32 v6, v6, 2.0, -v4
	v_fma_f32 v7, v7, 2.0, -v5
	;; [unrolled: 1-line block ×4, first 2 shown]
	v_sub_f32_e32 v14, v10, v20
	v_sub_f32_e32 v15, v11, v15
	s_barrier
	ds_write2_b64 v81, v[2:3], v[0:1] offset1:208
	ds_write2_b64 v25, v[6:7], v[4:5] offset0:32 offset1:240
	v_add_u32_e32 v0, 0x1a00, v93
	v_fma_f32 v10, v10, 2.0, -v14
	v_fma_f32 v11, v11, 2.0, -v15
	ds_write2_b64 v0, v[8:9], v[12:13] offset1:208
	v_add_u32_e32 v0, 0x2600, v94
	ds_write2_b64 v0, v[10:11], v[14:15] offset0:32 offset1:240
	s_waitcnt lgkmcnt(0)
	s_barrier
	ds_read2_b64 v[0:3], v24 offset1:208
	ds_read2_b64 v[4:7], v81 offset1:208
	ds_read2_b64 v[8:11], v25 offset0:32 offset1:240
	ds_read2_b64 v[12:15], v26 offset0:32 offset1:240
	s_waitcnt lgkmcnt(0)
	v_mul_f32_e32 v16, v62, v1
	v_fmac_f32_e32 v16, v61, v0
	v_mul_f32_e32 v0, v62, v0
	v_fma_f32 v1, v61, v1, -v0
	v_mul_f32_e32 v0, v64, v2
	v_fma_f32 v18, v63, v3, -v0
	v_mul_f32_e32 v0, v62, v12
	v_mul_f32_e32 v17, v64, v3
	;; [unrolled: 1-line block ×3, first 2 shown]
	v_fma_f32 v13, v61, v13, -v0
	v_mul_f32_e32 v20, v64, v15
	v_mul_f32_e32 v0, v64, v14
	v_fmac_f32_e32 v17, v63, v2
	v_fmac_f32_e32 v19, v61, v12
	;; [unrolled: 1-line block ×3, first 2 shown]
	v_fma_f32 v15, v63, v15, -v0
	v_sub_f32_e32 v0, v4, v16
	v_sub_f32_e32 v1, v5, v1
	v_fma_f32 v2, v4, 2.0, -v0
	v_fma_f32 v3, v5, 2.0, -v1
	v_sub_f32_e32 v4, v6, v17
	v_sub_f32_e32 v5, v7, v18
	;; [unrolled: 1-line block ×6, first 2 shown]
	v_fma_f32 v6, v6, 2.0, -v4
	v_fma_f32 v7, v7, 2.0, -v5
	;; [unrolled: 1-line block ×6, first 2 shown]
	s_barrier
	ds_write2_b64 v81, v[2:3], v[6:7] offset1:208
	ds_write2_b64 v25, v[0:1], v[4:5] offset0:32 offset1:240
	ds_write2_b64 v24, v[8:9], v[10:11] offset1:208
	ds_write2_b64 v26, v[12:13], v[14:15] offset0:32 offset1:240
	s_waitcnt lgkmcnt(0)
	s_barrier
	ds_read2_b64 v[0:3], v24 offset1:208
	ds_read2_b64 v[4:7], v81 offset1:208
	ds_read2_b64 v[8:11], v25 offset0:32 offset1:240
	ds_read2_b64 v[12:15], v26 offset0:32 offset1:240
	s_waitcnt lgkmcnt(3)
	v_mul_f32_e32 v16, v66, v1
	v_fmac_f32_e32 v16, v65, v0
	v_mul_f32_e32 v0, v66, v0
	v_fma_f32 v1, v65, v1, -v0
	v_mul_f32_e32 v0, v68, v2
	v_fma_f32 v18, v67, v3, -v0
	s_waitcnt lgkmcnt(0)
	v_mul_f32_e32 v0, v70, v12
	v_mul_f32_e32 v17, v68, v3
	;; [unrolled: 1-line block ×3, first 2 shown]
	v_fma_f32 v13, v69, v13, -v0
	v_mul_f32_e32 v0, v72, v14
	v_fmac_f32_e32 v17, v67, v2
	v_mul_f32_e32 v20, v72, v15
	v_fma_f32 v15, v71, v15, -v0
	v_sub_f32_e32 v0, v4, v16
	v_sub_f32_e32 v1, v5, v1
	v_fmac_f32_e32 v19, v69, v12
	v_fmac_f32_e32 v20, v71, v14
	v_fma_f32 v2, v4, 2.0, -v0
	v_fma_f32 v3, v5, 2.0, -v1
	v_sub_f32_e32 v4, v6, v17
	v_sub_f32_e32 v5, v7, v18
	v_fma_f32 v6, v6, 2.0, -v4
	v_fma_f32 v7, v7, 2.0, -v5
	v_sub_f32_e32 v12, v8, v19
	v_sub_f32_e32 v13, v9, v13
	;; [unrolled: 1-line block ×4, first 2 shown]
	v_fma_f32 v8, v8, 2.0, -v12
	v_fma_f32 v9, v9, 2.0, -v13
	;; [unrolled: 1-line block ×4, first 2 shown]
	ds_write2_b64 v81, v[2:3], v[6:7] offset1:208
	ds_write2_b64 v24, v[0:1], v[4:5] offset1:208
	ds_write2_b64 v25, v[8:9], v[10:11] offset0:32 offset1:240
	ds_write2_b64 v26, v[12:13], v[14:15] offset0:32 offset1:240
	s_waitcnt lgkmcnt(0)
	s_barrier
	s_and_b64 exec, exec, s[0:1]
	s_cbranch_execz .LBB0_15
; %bb.14:
	global_load_dwordx2 v[8:9], v79, s[12:13]
	global_load_dwordx2 v[10:11], v79, s[12:13] offset:1024
	global_load_dwordx2 v[12:13], v79, s[12:13] offset:2048
	;; [unrolled: 1-line block ×3, first 2 shown]
	ds_read_b64 v[16:17], v81
	v_mad_u64_u32 v[14:15], s[0:1], s6, v32, 0
	v_mad_u64_u32 v[18:19], s[2:3], s4, v80, 0
	v_or_b32_e32 v38, 0x80, v80
	v_or_b32_e32 v41, 0x200, v80
	;; [unrolled: 1-line block ×5, first 2 shown]
	v_mad_u64_u32 v[22:23], s[2:3], s4, v38, 0
	v_lshlrev_b32_e32 v35, 3, v41
	v_lshlrev_b32_e32 v36, 3, v42
	ds_read2st64_b64 v[0:3], v79 offset0:2 offset1:4
	v_or_b32_e32 v39, 0x100, v80
	ds_read2st64_b64 v[4:7], v79 offset0:6 offset1:8
	v_lshlrev_b32_e32 v37, 3, v43
	v_lshlrev_b32_e32 v45, 3, v44
	global_load_dwordx2 v[26:27], v35, s[12:13]
	global_load_dwordx2 v[28:29], v36, s[12:13]
	;; [unrolled: 1-line block ×4, first 2 shown]
	s_waitcnt lgkmcnt(2)
	v_mad_u64_u32 v[35:36], s[2:3], s7, v32, v[15:16]
	v_mad_u64_u32 v[24:25], s[2:3], s4, v39, 0
	v_mov_b32_e32 v15, v23
	v_mov_b32_e32 v40, s15
	s_mov_b32 s0, 0x13b13b14
	s_mov_b32 s1, 0x3f43b13b
	s_waitcnt vmcnt(4)
	v_mad_u64_u32 v[36:37], s[2:3], s5, v80, v[19:20]
	v_mad_u64_u32 v[37:38], s[2:3], s5, v38, v[15:16]
	v_mov_b32_e32 v15, v35
	v_mov_b32_e32 v19, v25
	v_lshlrev_b64 v[14:15], 3, v[14:15]
	v_mad_u64_u32 v[38:39], s[2:3], s5, v39, v[19:20]
	v_mov_b32_e32 v19, v36
	v_lshlrev_b64 v[18:19], 3, v[18:19]
	v_add_co_u32_e32 v32, vcc, s14, v14
	v_addc_co_u32_e32 v35, vcc, v40, v15, vcc
	v_add_co_u32_e32 v14, vcc, v32, v18
	v_mul_f32_e32 v18, v17, v9
	v_mul_f32_e32 v9, v16, v9
	v_addc_co_u32_e32 v15, vcc, v35, v19, vcc
	s_waitcnt lgkmcnt(1)
	v_mul_f32_e32 v19, v1, v11
	v_mul_f32_e32 v11, v0, v11
	;; [unrolled: 1-line block ×4, first 2 shown]
	v_fmac_f32_e32 v18, v16, v8
	v_fma_f32 v8, v8, v17, -v9
	v_fmac_f32_e32 v19, v0, v10
	v_fma_f32 v10, v10, v1, -v11
	;; [unrolled: 2-line block ×3, first 2 shown]
	v_cvt_f64_f32_e32 v[0:1], v18
	v_cvt_f64_f32_e32 v[2:3], v8
	v_cvt_f64_f32_e32 v[8:9], v19
	v_cvt_f64_f32_e32 v[10:11], v10
	v_mul_f64 v[0:1], v[0:1], s[0:1]
	v_mul_f64 v[2:3], v[2:3], s[0:1]
	;; [unrolled: 1-line block ×4, first 2 shown]
	v_cvt_f64_f32_e32 v[12:13], v36
	v_cvt_f64_f32_e32 v[16:17], v16
	v_mov_b32_e32 v23, v37
	v_lshlrev_b64 v[22:23], 3, v[22:23]
	v_mul_f64 v[12:13], v[12:13], s[0:1]
	v_mul_f64 v[16:17], v[16:17], s[0:1]
	v_cvt_f32_f64_e32 v0, v[0:1]
	v_cvt_f32_f64_e32 v1, v[2:3]
	;; [unrolled: 1-line block ×4, first 2 shown]
	v_add_co_u32_e32 v18, vcc, v32, v22
	v_addc_co_u32_e32 v19, vcc, v35, v23, vcc
	global_store_dwordx2 v[14:15], v[0:1], off
	global_store_dwordx2 v[18:19], v[2:3], off
	s_waitcnt lgkmcnt(0)
	v_mul_f32_e32 v2, v5, v21
	v_fmac_f32_e32 v2, v4, v20
	v_mul_f32_e32 v4, v4, v21
	v_mov_b32_e32 v25, v38
	v_cvt_f32_f64_e32 v8, v[12:13]
	v_or_b32_e32 v12, 0x180, v80
	v_fma_f32 v4, v20, v5, -v4
	v_lshlrev_b64 v[24:25], 3, v[24:25]
	v_cvt_f32_f64_e32 v9, v[16:17]
	v_cvt_f64_f32_e32 v[2:3], v2
	v_cvt_f64_f32_e32 v[4:5], v4
	v_mad_u64_u32 v[10:11], s[2:3], s4, v12, 0
	v_add_co_u32_e32 v0, vcc, v32, v24
	v_addc_co_u32_e32 v1, vcc, v35, v25, vcc
	global_store_dwordx2 v[0:1], v[8:9], off
	v_mul_f64 v[0:1], v[2:3], s[0:1]
	v_mul_f64 v[2:3], v[4:5], s[0:1]
	v_mov_b32_e32 v4, v11
	v_mad_u64_u32 v[4:5], s[2:3], s5, v12, v[4:5]
	v_or_b32_e32 v20, 0x380, v80
	v_or_b32_e32 v22, 0x480, v80
	v_lshlrev_b32_e32 v5, 3, v20
	v_lshlrev_b32_e32 v16, 3, v22
	global_load_dwordx2 v[8:9], v5, s[12:13]
	v_mov_b32_e32 v11, v4
	global_load_dwordx2 v[16:17], v16, s[12:13]
	v_cvt_f32_f64_e32 v0, v[0:1]
	v_cvt_f32_f64_e32 v1, v[2:3]
	v_lshlrev_b64 v[2:3], 3, v[10:11]
	v_mad_u64_u32 v[10:11], s[2:3], s4, v41, 0
	v_add_co_u32_e32 v2, vcc, v32, v2
	v_addc_co_u32_e32 v3, vcc, v35, v3, vcc
	global_store_dwordx2 v[2:3], v[0:1], off
	v_mov_b32_e32 v0, v11
	v_or_b32_e32 v21, 0x400, v80
	v_mad_u64_u32 v[11:12], s[2:3], s5, v41, v[0:1]
	v_lshlrev_b32_e32 v0, 3, v21
	global_load_dwordx2 v[12:13], v0, s[12:13]
	s_waitcnt vmcnt(10)
	v_mul_f32_e32 v4, v7, v27
	v_fmac_f32_e32 v4, v6, v26
	v_mul_f32_e32 v6, v6, v27
	v_fma_f32 v6, v26, v7, -v6
	v_cvt_f64_f32_e32 v[4:5], v4
	v_cvt_f64_f32_e32 v[6:7], v6
	ds_read2st64_b64 v[0:3], v79 offset0:10 offset1:12
	v_mad_u64_u32 v[14:15], s[2:3], s4, v42, 0
	v_mul_f64 v[4:5], v[4:5], s[0:1]
	v_mul_f64 v[6:7], v[6:7], s[0:1]
	v_or_b32_e32 v23, 0x500, v80
	v_or_b32_e32 v24, 0x580, v80
	v_cvt_f32_f64_e32 v4, v[4:5]
	v_cvt_f32_f64_e32 v5, v[6:7]
	v_lshlrev_b64 v[6:7], 3, v[10:11]
	s_waitcnt vmcnt(9) lgkmcnt(0)
	v_mul_f32_e32 v10, v1, v29
	v_fmac_f32_e32 v10, v0, v28
	v_mul_f32_e32 v0, v0, v29
	v_cvt_f64_f32_e32 v[10:11], v10
	v_fma_f32 v0, v28, v1, -v0
	v_cvt_f64_f32_e32 v[0:1], v0
	v_add_co_u32_e32 v6, vcc, v32, v6
	v_addc_co_u32_e32 v7, vcc, v35, v7, vcc
	v_mul_f64 v[10:11], v[10:11], s[0:1]
	v_mul_f64 v[0:1], v[0:1], s[0:1]
	global_store_dwordx2 v[6:7], v[4:5], off
	s_waitcnt vmcnt(9)
	v_mul_f32_e32 v6, v3, v31
	v_fmac_f32_e32 v6, v2, v30
	v_mul_f32_e32 v2, v2, v31
	v_fma_f32 v2, v30, v3, -v2
	v_cvt_f64_f32_e32 v[2:3], v2
	v_cvt_f64_f32_e32 v[6:7], v6
	v_cvt_f32_f64_e32 v4, v[10:11]
	v_cvt_f32_f64_e32 v5, v[0:1]
	v_mul_f64 v[10:11], v[2:3], s[0:1]
	v_lshlrev_b32_e32 v2, 3, v23
	v_mul_f64 v[6:7], v[6:7], s[0:1]
	v_cvt_f32_f64_e32 v6, v[6:7]
	v_cvt_f32_f64_e32 v7, v[10:11]
	s_waitcnt vmcnt(3)
	v_mad_u64_u32 v[18:19], s[2:3], s5, v42, v[15:16]
	v_mov_b32_e32 v15, v18
	v_lshlrev_b64 v[0:1], 3, v[14:15]
	global_load_dwordx2 v[14:15], v2, s[12:13]
	v_add_co_u32_e32 v0, vcc, v32, v0
	v_addc_co_u32_e32 v1, vcc, v35, v1, vcc
	global_store_dwordx2 v[0:1], v[4:5], off
	v_mad_u64_u32 v[4:5], s[2:3], s4, v43, 0
	ds_read2st64_b64 v[0:3], v79 offset0:14 offset1:16
	v_mad_u64_u32 v[10:11], s[2:3], s5, v43, v[5:6]
	s_waitcnt lgkmcnt(0)
	v_mul_f32_e32 v5, v1, v9
	v_fmac_f32_e32 v5, v0, v8
	v_cvt_f64_f32_e32 v[18:19], v5
	v_mov_b32_e32 v5, v10
	v_lshlrev_b32_e32 v10, 3, v24
	global_load_dwordx2 v[10:11], v10, s[12:13]
	v_mul_f32_e32 v0, v0, v9
	v_fma_f32 v0, v8, v1, -v0
	v_cvt_f64_f32_e32 v[0:1], v0
	v_lshlrev_b64 v[4:5], 3, v[4:5]
	v_mul_f64 v[8:9], v[18:19], s[0:1]
	v_mad_u64_u32 v[18:19], s[2:3], s4, v20, 0
	v_mul_f64 v[0:1], v[0:1], s[0:1]
	v_add_co_u32_e32 v4, vcc, v32, v4
	v_addc_co_u32_e32 v5, vcc, v35, v5, vcc
	global_store_dwordx2 v[4:5], v[6:7], off
	v_cvt_f32_f64_e32 v4, v[8:9]
	v_cvt_f32_f64_e32 v5, v[0:1]
	v_mov_b32_e32 v0, v19
	v_mad_u64_u32 v[0:1], s[2:3], s5, v20, v[0:1]
	s_waitcnt vmcnt(5)
	v_mul_f32_e32 v1, v3, v13
	v_fmac_f32_e32 v1, v2, v12
	v_cvt_f64_f32_e32 v[6:7], v1
	v_mul_f32_e32 v1, v2, v13
	v_fma_f32 v1, v12, v3, -v1
	v_cvt_f64_f32_e32 v[1:2], v1
	v_mul_f64 v[6:7], v[6:7], s[0:1]
	v_mov_b32_e32 v19, v0
	v_lshlrev_b64 v[8:9], 3, v[18:19]
	v_mul_f64 v[12:13], v[1:2], s[0:1]
	v_add_co_u32_e32 v0, vcc, v32, v8
	v_addc_co_u32_e32 v1, vcc, v35, v9, vcc
	global_store_dwordx2 v[0:1], v[4:5], off
	ds_read2st64_b64 v[0:3], v79 offset0:18 offset1:20
	v_mad_u64_u32 v[4:5], s[2:3], s4, v21, 0
	v_cvt_f32_f64_e32 v6, v[6:7]
	v_cvt_f32_f64_e32 v7, v[12:13]
	v_mad_u64_u32 v[8:9], s[2:3], s5, v21, v[5:6]
	s_waitcnt lgkmcnt(0)
	v_mul_f32_e32 v5, v1, v17
	v_fmac_f32_e32 v5, v0, v16
	v_mul_f32_e32 v0, v0, v17
	v_fma_f32 v0, v16, v1, -v0
	v_cvt_f64_f32_e32 v[0:1], v0
	v_cvt_f64_f32_e32 v[12:13], v5
	v_mov_b32_e32 v5, v8
	v_lshlrev_b64 v[4:5], 3, v[4:5]
	v_mul_f64 v[0:1], v[0:1], s[0:1]
	v_mul_f64 v[8:9], v[12:13], s[0:1]
	v_mad_u64_u32 v[12:13], s[2:3], s4, v22, 0
	v_add_co_u32_e32 v4, vcc, v32, v4
	v_addc_co_u32_e32 v5, vcc, v35, v5, vcc
	global_store_dwordx2 v[4:5], v[6:7], off
	v_cvt_f32_f64_e32 v5, v[0:1]
	v_mov_b32_e32 v0, v13
	v_mad_u64_u32 v[0:1], s[2:3], s5, v22, v[0:1]
	s_waitcnt vmcnt(5)
	v_mul_f32_e32 v1, v3, v15
	v_fmac_f32_e32 v1, v2, v14
	v_cvt_f64_f32_e32 v[6:7], v1
	v_mul_f32_e32 v1, v2, v15
	v_fma_f32 v1, v14, v3, -v1
	v_cvt_f64_f32_e32 v[1:2], v1
	v_mul_f64 v[6:7], v[6:7], s[0:1]
	v_mov_b32_e32 v13, v0
	v_cvt_f32_f64_e32 v4, v[8:9]
	v_lshlrev_b64 v[8:9], 3, v[12:13]
	v_mul_f64 v[12:13], v[1:2], s[0:1]
	v_add_co_u32_e32 v0, vcc, v32, v8
	v_addc_co_u32_e32 v1, vcc, v35, v9, vcc
	global_store_dwordx2 v[0:1], v[4:5], off
	ds_read2st64_b64 v[0:3], v79 offset0:22 offset1:24
	v_mad_u64_u32 v[4:5], s[2:3], s4, v23, 0
	v_cvt_f32_f64_e32 v6, v[6:7]
	v_cvt_f32_f64_e32 v7, v[12:13]
	v_mad_u64_u32 v[8:9], s[2:3], s5, v23, v[5:6]
	s_waitcnt vmcnt(4) lgkmcnt(0)
	v_mul_f32_e32 v5, v1, v11
	v_fmac_f32_e32 v5, v0, v10
	v_mul_f32_e32 v0, v0, v11
	v_fma_f32 v0, v10, v1, -v0
	v_cvt_f64_f32_e32 v[0:1], v0
	v_cvt_f64_f32_e32 v[12:13], v5
	v_mov_b32_e32 v5, v8
	v_lshlrev_b64 v[4:5], 3, v[4:5]
	v_mul_f64 v[0:1], v[0:1], s[0:1]
	v_mad_u64_u32 v[10:11], s[2:3], s4, v24, 0
	v_add_co_u32_e32 v4, vcc, v32, v4
	v_addc_co_u32_e32 v5, vcc, v35, v5, vcc
	global_store_dwordx2 v[4:5], v[6:7], off
	v_cvt_f32_f64_e32 v5, v[0:1]
	v_mov_b32_e32 v0, v11
	v_mad_u64_u32 v[0:1], s[2:3], s5, v24, v[0:1]
	v_mul_f64 v[8:9], v[12:13], s[0:1]
	v_mul_f32_e32 v1, v3, v34
	v_fmac_f32_e32 v1, v2, v33
	v_cvt_f64_f32_e32 v[6:7], v1
	v_mul_f32_e32 v1, v2, v34
	v_fma_f32 v1, v33, v3, -v1
	v_cvt_f64_f32_e32 v[1:2], v1
	v_mov_b32_e32 v11, v0
	v_cvt_f32_f64_e32 v4, v[8:9]
	v_mul_f64 v[6:7], v[6:7], s[0:1]
	v_mul_f64 v[0:1], v[1:2], s[0:1]
	v_mad_u64_u32 v[2:3], s[0:1], s4, v44, 0
	v_lshlrev_b64 v[8:9], 3, v[10:11]
	v_mad_u64_u32 v[10:11], s[0:1], s5, v44, v[3:4]
	v_add_co_u32_e32 v8, vcc, v32, v8
	v_addc_co_u32_e32 v9, vcc, v35, v9, vcc
	v_mov_b32_e32 v3, v10
	global_store_dwordx2 v[8:9], v[4:5], off
	v_cvt_f32_f64_e32 v4, v[6:7]
	v_cvt_f32_f64_e32 v5, v[0:1]
	v_lshlrev_b64 v[0:1], 3, v[2:3]
	v_add_co_u32_e32 v0, vcc, v32, v0
	v_addc_co_u32_e32 v1, vcc, v35, v1, vcc
	global_store_dwordx2 v[0:1], v[4:5], off
.LBB0_15:
	s_endpgm
	.section	.rodata,"a",@progbits
	.p2align	6, 0x0
	.amdhsa_kernel bluestein_single_back_len1664_dim1_sp_op_CI_CI
		.amdhsa_group_segment_fixed_size 13312
		.amdhsa_private_segment_fixed_size 0
		.amdhsa_kernarg_size 104
		.amdhsa_user_sgpr_count 6
		.amdhsa_user_sgpr_private_segment_buffer 1
		.amdhsa_user_sgpr_dispatch_ptr 0
		.amdhsa_user_sgpr_queue_ptr 0
		.amdhsa_user_sgpr_kernarg_segment_ptr 1
		.amdhsa_user_sgpr_dispatch_id 0
		.amdhsa_user_sgpr_flat_scratch_init 0
		.amdhsa_user_sgpr_private_segment_size 0
		.amdhsa_uses_dynamic_stack 0
		.amdhsa_system_sgpr_private_segment_wavefront_offset 0
		.amdhsa_system_sgpr_workgroup_id_x 1
		.amdhsa_system_sgpr_workgroup_id_y 0
		.amdhsa_system_sgpr_workgroup_id_z 0
		.amdhsa_system_sgpr_workgroup_info 0
		.amdhsa_system_vgpr_workitem_id 0
		.amdhsa_next_free_vgpr 178
		.amdhsa_next_free_sgpr 18
		.amdhsa_reserve_vcc 1
		.amdhsa_reserve_flat_scratch 0
		.amdhsa_float_round_mode_32 0
		.amdhsa_float_round_mode_16_64 0
		.amdhsa_float_denorm_mode_32 3
		.amdhsa_float_denorm_mode_16_64 3
		.amdhsa_dx10_clamp 1
		.amdhsa_ieee_mode 1
		.amdhsa_fp16_overflow 0
		.amdhsa_exception_fp_ieee_invalid_op 0
		.amdhsa_exception_fp_denorm_src 0
		.amdhsa_exception_fp_ieee_div_zero 0
		.amdhsa_exception_fp_ieee_overflow 0
		.amdhsa_exception_fp_ieee_underflow 0
		.amdhsa_exception_fp_ieee_inexact 0
		.amdhsa_exception_int_div_zero 0
	.end_amdhsa_kernel
	.text
.Lfunc_end0:
	.size	bluestein_single_back_len1664_dim1_sp_op_CI_CI, .Lfunc_end0-bluestein_single_back_len1664_dim1_sp_op_CI_CI
                                        ; -- End function
	.section	.AMDGPU.csdata,"",@progbits
; Kernel info:
; codeLenInByte = 13880
; NumSgprs: 22
; NumVgprs: 178
; ScratchSize: 0
; MemoryBound: 0
; FloatMode: 240
; IeeeMode: 1
; LDSByteSize: 13312 bytes/workgroup (compile time only)
; SGPRBlocks: 2
; VGPRBlocks: 44
; NumSGPRsForWavesPerEU: 22
; NumVGPRsForWavesPerEU: 178
; Occupancy: 1
; WaveLimiterHint : 1
; COMPUTE_PGM_RSRC2:SCRATCH_EN: 0
; COMPUTE_PGM_RSRC2:USER_SGPR: 6
; COMPUTE_PGM_RSRC2:TRAP_HANDLER: 0
; COMPUTE_PGM_RSRC2:TGID_X_EN: 1
; COMPUTE_PGM_RSRC2:TGID_Y_EN: 0
; COMPUTE_PGM_RSRC2:TGID_Z_EN: 0
; COMPUTE_PGM_RSRC2:TIDIG_COMP_CNT: 0
	.type	__hip_cuid_98bfbd29d6416b95,@object ; @__hip_cuid_98bfbd29d6416b95
	.section	.bss,"aw",@nobits
	.globl	__hip_cuid_98bfbd29d6416b95
__hip_cuid_98bfbd29d6416b95:
	.byte	0                               ; 0x0
	.size	__hip_cuid_98bfbd29d6416b95, 1

	.ident	"AMD clang version 19.0.0git (https://github.com/RadeonOpenCompute/llvm-project roc-6.4.0 25133 c7fe45cf4b819c5991fe208aaa96edf142730f1d)"
	.section	".note.GNU-stack","",@progbits
	.addrsig
	.addrsig_sym __hip_cuid_98bfbd29d6416b95
	.amdgpu_metadata
---
amdhsa.kernels:
  - .args:
      - .actual_access:  read_only
        .address_space:  global
        .offset:         0
        .size:           8
        .value_kind:     global_buffer
      - .actual_access:  read_only
        .address_space:  global
        .offset:         8
        .size:           8
        .value_kind:     global_buffer
      - .actual_access:  read_only
        .address_space:  global
        .offset:         16
        .size:           8
        .value_kind:     global_buffer
      - .actual_access:  read_only
        .address_space:  global
        .offset:         24
        .size:           8
        .value_kind:     global_buffer
      - .actual_access:  read_only
        .address_space:  global
        .offset:         32
        .size:           8
        .value_kind:     global_buffer
      - .offset:         40
        .size:           8
        .value_kind:     by_value
      - .address_space:  global
        .offset:         48
        .size:           8
        .value_kind:     global_buffer
      - .address_space:  global
        .offset:         56
        .size:           8
        .value_kind:     global_buffer
      - .address_space:  global
        .offset:         64
        .size:           8
        .value_kind:     global_buffer
      - .address_space:  global
        .offset:         72
        .size:           8
        .value_kind:     global_buffer
      - .offset:         80
        .size:           4
        .value_kind:     by_value
      - .address_space:  global
        .offset:         88
        .size:           8
        .value_kind:     global_buffer
      - .address_space:  global
        .offset:         96
        .size:           8
        .value_kind:     global_buffer
    .group_segment_fixed_size: 13312
    .kernarg_segment_align: 8
    .kernarg_segment_size: 104
    .language:       OpenCL C
    .language_version:
      - 2
      - 0
    .max_flat_workgroup_size: 208
    .name:           bluestein_single_back_len1664_dim1_sp_op_CI_CI
    .private_segment_fixed_size: 0
    .sgpr_count:     22
    .sgpr_spill_count: 0
    .symbol:         bluestein_single_back_len1664_dim1_sp_op_CI_CI.kd
    .uniform_work_group_size: 1
    .uses_dynamic_stack: false
    .vgpr_count:     178
    .vgpr_spill_count: 0
    .wavefront_size: 64
amdhsa.target:   amdgcn-amd-amdhsa--gfx906
amdhsa.version:
  - 1
  - 2
...

	.end_amdgpu_metadata
